;; amdgpu-corpus repo=ROCm/rocFFT kind=compiled arch=gfx1030 opt=O3
	.text
	.amdgcn_target "amdgcn-amd-amdhsa--gfx1030"
	.amdhsa_code_object_version 6
	.protected	bluestein_single_back_len510_dim1_dp_op_CI_CI ; -- Begin function bluestein_single_back_len510_dim1_dp_op_CI_CI
	.globl	bluestein_single_back_len510_dim1_dp_op_CI_CI
	.p2align	8
	.type	bluestein_single_back_len510_dim1_dp_op_CI_CI,@function
bluestein_single_back_len510_dim1_dp_op_CI_CI: ; @bluestein_single_back_len510_dim1_dp_op_CI_CI
; %bb.0:
	s_mov_b64 s[62:63], s[2:3]
	s_mov_b64 s[60:61], s[0:1]
	s_load_dwordx4 s[0:3], s[4:5], 0x28
	v_mul_u32_u24_e32 v1, 0x788, v0
	s_add_u32 s60, s60, s7
	s_addc_u32 s61, s61, 0
	v_lshrrev_b32_e32 v1, 16, v1
	v_mad_u64_u32 v[212:213], null, s6, 7, v[1:2]
	v_mov_b32_e32 v213, 0
                                        ; kill: def $vgpr2 killed $sgpr0 killed $exec
	s_waitcnt lgkmcnt(0)
	v_cmp_gt_u64_e32 vcc_lo, s[0:1], v[212:213]
	s_and_saveexec_b32 s0, vcc_lo
	s_cbranch_execz .LBB0_23
; %bb.1:
	v_mul_hi_u32 v2, 0x24924925, v212
	v_mul_lo_u16 v1, v1, 34
	s_clause 0x1
	s_load_dwordx2 s[12:13], s[4:5], 0x0
	s_load_dwordx2 s[14:15], s[4:5], 0x38
	v_sub_nc_u16 v0, v0, v1
	v_sub_nc_u32_e32 v3, v212, v2
	v_and_b32_e32 v255, 0xffff, v0
	v_cmp_gt_u16_e32 vcc_lo, 30, v0
	v_lshrrev_b32_e32 v3, 1, v3
	v_add_nc_u32_e32 v2, v3, v2
	v_lshrrev_b32_e32 v2, 2, v2
	v_mul_lo_u32 v2, v2, 7
	v_sub_nc_u32_e32 v1, v212, v2
	v_mul_u32_u24_e32 v241, 0x1fe, v1
	v_lshlrev_b32_e32 v0, 4, v241
	buffer_store_dword v0, off, s[60:63], 0 ; 4-byte Folded Spill
	v_or_b32_e32 v0, 0x1e0, v255
	buffer_store_dword v0, off, s[60:63], 0 offset:128 ; 4-byte Folded Spill
	s_and_saveexec_b32 s1, vcc_lo
	s_cbranch_execz .LBB0_3
; %bb.2:
	s_load_dwordx2 s[6:7], s[4:5], 0x18
	v_lshlrev_b32_e32 v154, 4, v255
	v_or_b32_e32 v64, 0x1e0, v255
	s_waitcnt lgkmcnt(0)
	v_add_co_u32 v16, s0, s12, v154
	v_add_co_ci_u32_e64 v17, null, s13, 0, s0
	v_lshlrev_b32_e32 v20, 4, v64
	v_add_co_u32 v36, s0, 0x800, v16
	v_add_co_ci_u32_e64 v37, s0, 0, v17, s0
	v_add_co_u32 v52, s0, 0x1000, v16
	v_add_co_ci_u32_e64 v53, s0, 0, v17, s0
	v_add_co_u32 v128, s0, 0x1800, v16
	s_load_dwordx4 s[8:11], s[6:7], 0x0
	v_add_co_ci_u32_e64 v129, s0, 0, v17, s0
	s_clause 0x9
	global_load_dwordx4 v[0:3], v154, s[12:13] offset:480
	global_load_dwordx4 v[4:7], v154, s[12:13] offset:960
	;; [unrolled: 1-line block ×4, first 2 shown]
	global_load_dwordx4 v[16:19], v154, s[12:13]
	global_load_dwordx4 v[20:23], v20, s[12:13]
	global_load_dwordx4 v[24:27], v[36:37], off offset:352
	global_load_dwordx4 v[28:31], v[36:37], off offset:832
	;; [unrolled: 1-line block ×4, first 2 shown]
	s_waitcnt lgkmcnt(0)
	v_mad_u64_u32 v[56:57], null, s10, v212, 0
	v_mad_u64_u32 v[58:59], null, s8, v255, 0
	s_mul_i32 s0, s9, 0x1e0
	s_mul_hi_u32 s6, s8, 0x1e0
	s_mul_i32 s7, s8, 0x1e0
	s_add_i32 s6, s6, s0
	v_mov_b32_e32 v40, v57
	v_mov_b32_e32 v41, v59
	v_mad_u64_u32 v[59:60], null, s11, v212, v[40:41]
	v_mad_u64_u32 v[62:63], null, s9, v255, v[41:42]
	v_mad_u64_u32 v[60:61], null, s8, v64, 0
	s_clause 0x3
	global_load_dwordx4 v[40:43], v[52:53], off offset:224
	global_load_dwordx4 v[44:47], v[52:53], off offset:704
	;; [unrolled: 1-line block ×4, first 2 shown]
	v_mov_b32_e32 v57, v59
	v_mov_b32_e32 v59, v62
	v_mad_u64_u32 v[61:62], null, s9, v64, v[61:62]
	v_lshlrev_b64 v[56:57], 4, v[56:57]
	v_lshlrev_b64 v[58:59], 4, v[58:59]
	v_add_co_u32 v66, s0, s2, v56
	v_add_co_ci_u32_e64 v67, s0, s3, v57, s0
	v_lshlrev_b64 v[56:57], 4, v[60:61]
	v_add_co_u32 v62, s0, v66, v58
	v_add_co_ci_u32_e64 v63, s0, v67, v59, s0
	v_add_co_u32 v64, s0, v62, s7
	v_add_co_ci_u32_e64 v65, s0, s6, v63, s0
	;; [unrolled: 2-line block ×4, first 2 shown]
	global_load_dwordx4 v[56:59], v[56:57], off
	v_add_co_u32 v72, s0, v68, s7
	v_add_co_ci_u32_e64 v73, s0, s6, v69, s0
	s_clause 0x1
	global_load_dwordx4 v[60:63], v[62:63], off
	global_load_dwordx4 v[64:67], v[64:65], off
	v_add_co_u32 v76, s0, v72, s7
	v_add_co_ci_u32_e64 v77, s0, s6, v73, s0
	s_clause 0x1
	global_load_dwordx4 v[68:71], v[68:69], off
	global_load_dwordx4 v[72:75], v[72:73], off
	v_add_co_u32 v80, s0, v76, s7
	v_add_co_ci_u32_e64 v81, s0, s6, v77, s0
	global_load_dwordx4 v[76:79], v[76:77], off
	v_add_co_u32 v84, s0, v80, s7
	v_add_co_ci_u32_e64 v85, s0, s6, v81, s0
	global_load_dwordx4 v[80:83], v[80:81], off
	v_add_co_u32 v88, s0, v84, s7
	v_add_co_ci_u32_e64 v89, s0, s6, v85, s0
	global_load_dwordx4 v[84:87], v[84:85], off
	v_add_co_u32 v92, s0, v88, s7
	v_add_co_ci_u32_e64 v93, s0, s6, v89, s0
	global_load_dwordx4 v[88:91], v[88:89], off
	v_add_co_u32 v96, s0, v92, s7
	v_add_co_ci_u32_e64 v97, s0, s6, v93, s0
	global_load_dwordx4 v[92:95], v[92:93], off
	v_add_co_u32 v100, s0, v96, s7
	v_add_co_ci_u32_e64 v101, s0, s6, v97, s0
	global_load_dwordx4 v[96:99], v[96:97], off
	v_add_co_u32 v104, s0, v100, s7
	v_add_co_ci_u32_e64 v105, s0, s6, v101, s0
	global_load_dwordx4 v[100:103], v[100:101], off
	v_add_co_u32 v108, s0, v104, s7
	v_add_co_ci_u32_e64 v109, s0, s6, v105, s0
	global_load_dwordx4 v[104:107], v[104:105], off
	v_add_co_u32 v112, s0, v108, s7
	v_add_co_ci_u32_e64 v113, s0, s6, v109, s0
	global_load_dwordx4 v[108:111], v[108:109], off
	v_add_co_u32 v124, s0, v112, s7
	v_add_co_ci_u32_e64 v125, s0, s6, v113, s0
	global_load_dwordx4 v[112:115], v[112:113], off
	v_add_co_u32 v132, s0, v124, s7
	v_add_co_ci_u32_e64 v133, s0, s6, v125, s0
	s_clause 0x1
	global_load_dwordx4 v[116:119], v[128:129], off offset:96
	global_load_dwordx4 v[120:123], v[128:129], off offset:576
	global_load_dwordx4 v[124:127], v[124:125], off
	global_load_dwordx4 v[128:131], v[128:129], off offset:1056
	global_load_dwordx4 v[132:135], v[132:133], off
	s_waitcnt vmcnt(19)
	v_mul_f64 v[138:139], v[58:59], v[22:23]
	v_mul_f64 v[152:153], v[56:57], v[22:23]
	s_waitcnt vmcnt(18)
	v_mul_f64 v[136:137], v[62:63], v[18:19]
	v_mul_f64 v[18:19], v[60:61], v[18:19]
	;; [unrolled: 3-line block ×6, first 2 shown]
	v_fma_f64 v[2:3], v[56:57], v[20:21], v[138:139]
	v_fma_f64 v[14:15], v[60:61], v[16:17], v[136:137]
	v_fma_f64 v[16:17], v[62:63], v[16:17], -v[18:19]
	s_waitcnt vmcnt(13)
	v_mul_f64 v[18:19], v[82:83], v[26:27]
	v_mul_f64 v[26:27], v[80:81], v[26:27]
	v_fma_f64 v[60:61], v[64:65], v[0:1], v[140:141]
	v_fma_f64 v[62:63], v[66:67], v[0:1], -v[142:143]
	s_waitcnt vmcnt(12)
	v_mul_f64 v[0:1], v[86:87], v[30:31]
	v_mul_f64 v[30:31], v[84:85], v[30:31]
	;; [unrolled: 5-line block ×3, first 2 shown]
	s_waitcnt vmcnt(10)
	v_mul_f64 v[56:57], v[94:95], v[38:39]
	v_mul_f64 v[38:39], v[92:93], v[38:39]
	s_waitcnt vmcnt(9)
	v_mul_f64 v[68:69], v[98:99], v[42:43]
	v_mul_f64 v[42:43], v[96:97], v[42:43]
	v_fma_f64 v[6:7], v[72:73], v[8:9], v[146:147]
	v_fma_f64 v[8:9], v[74:75], v[8:9], -v[10:11]
	v_fma_f64 v[10:11], v[76:77], v[12:13], v[148:149]
	s_waitcnt vmcnt(8)
	v_mul_f64 v[70:71], v[102:103], v[46:47]
	v_mul_f64 v[46:47], v[100:101], v[46:47]
	v_fma_f64 v[12:13], v[78:79], v[12:13], -v[150:151]
	s_waitcnt vmcnt(7)
	v_mul_f64 v[72:73], v[106:107], v[50:51]
	v_mul_f64 v[50:51], v[104:105], v[50:51]
	v_fma_f64 v[22:23], v[80:81], v[24:25], v[18:19]
	v_fma_f64 v[24:25], v[82:83], v[24:25], -v[26:27]
	v_fma_f64 v[26:27], v[84:85], v[28:29], v[0:1]
	s_waitcnt vmcnt(6)
	v_mul_f64 v[74:75], v[110:111], v[54:55]
	v_mul_f64 v[54:55], v[108:109], v[54:55]
	v_fma_f64 v[28:29], v[86:87], v[28:29], -v[30:31]
	v_fma_f64 v[30:31], v[88:89], v[32:33], v[4:5]
	v_fma_f64 v[32:33], v[90:91], v[32:33], -v[34:35]
	v_fma_f64 v[34:35], v[92:93], v[36:37], v[56:57]
	s_waitcnt vmcnt(4)
	v_mul_f64 v[76:77], v[114:115], v[118:119]
	v_mul_f64 v[78:79], v[112:113], v[118:119]
	s_waitcnt vmcnt(2)
	v_mul_f64 v[118:119], v[126:127], v[122:123]
	v_mul_f64 v[122:123], v[124:125], v[122:123]
	;; [unrolled: 3-line block ×3, first 2 shown]
	v_fma_f64 v[36:37], v[94:95], v[36:37], -v[38:39]
	v_fma_f64 v[38:39], v[96:97], v[40:41], v[68:69]
	v_fma_f64 v[40:41], v[98:99], v[40:41], -v[42:43]
	v_fma_f64 v[42:43], v[100:101], v[44:45], v[70:71]
	;; [unrolled: 2-line block ×3, first 2 shown]
	v_fma_f64 v[48:49], v[106:107], v[48:49], -v[50:51]
	v_lshlrev_b32_e32 v1, 4, v241
	v_fma_f64 v[4:5], v[58:59], v[20:21], -v[152:153]
	v_fma_f64 v[50:51], v[108:109], v[52:53], v[74:75]
	v_fma_f64 v[52:53], v[110:111], v[52:53], -v[54:55]
	v_lshl_add_u32 v0, v255, 4, v1
	v_add_nc_u32_e32 v1, v1, v154
	v_fma_f64 v[54:55], v[112:113], v[116:117], v[76:77]
	v_fma_f64 v[56:57], v[114:115], v[116:117], -v[78:79]
	v_fma_f64 v[68:69], v[124:125], v[120:121], v[118:119]
	v_fma_f64 v[70:71], v[126:127], v[120:121], -v[122:123]
	;; [unrolled: 2-line block ×3, first 2 shown]
	ds_write_b128 v0, v[14:17]
	ds_write_b128 v1, v[60:63] offset:480
	ds_write_b128 v1, v[64:67] offset:960
	;; [unrolled: 1-line block ×16, first 2 shown]
.LBB0_3:
	s_or_b32 exec_lo, exec_lo, s1
	s_waitcnt lgkmcnt(0)
	s_waitcnt_vscnt null, 0x0
	s_barrier
	buffer_gl0_inv
                                        ; implicit-def: $vgpr4_vgpr5
                                        ; implicit-def: $vgpr64_vgpr65
                                        ; implicit-def: $vgpr68_vgpr69
                                        ; implicit-def: $vgpr72_vgpr73
                                        ; implicit-def: $vgpr76_vgpr77
                                        ; implicit-def: $vgpr60_vgpr61
                                        ; implicit-def: $vgpr56_vgpr57
                                        ; implicit-def: $vgpr44_vgpr45
                                        ; implicit-def: $vgpr52_vgpr53
                                        ; implicit-def: $vgpr48_vgpr49
                                        ; implicit-def: $vgpr32_vgpr33
                                        ; implicit-def: $vgpr28_vgpr29
                                        ; implicit-def: $vgpr24_vgpr25
                                        ; implicit-def: $vgpr20_vgpr21
                                        ; implicit-def: $vgpr16_vgpr17
                                        ; implicit-def: $vgpr12_vgpr13
                                        ; implicit-def: $vgpr8_vgpr9
	s_and_saveexec_b32 s0, vcc_lo
	s_cbranch_execz .LBB0_5
; %bb.4:
	v_lshlrev_b32_e32 v0, 4, v255
	v_lshl_add_u32 v0, v241, 4, v0
	ds_read_b128 v[4:7], v0
	ds_read_b128 v[64:67], v0 offset:480
	ds_read_b128 v[68:71], v0 offset:960
	;; [unrolled: 1-line block ×16, first 2 shown]
.LBB0_5:
	s_or_b32 exec_lo, exec_lo, s0
	s_waitcnt lgkmcnt(0)
	v_add_f64 v[142:143], v[66:67], -v[10:11]
	v_add_f64 v[156:157], v[64:65], -v[8:9]
	s_mov_b32 s0, 0x5d8e7cdc
	s_mov_b32 s1, 0xbfd71e95
	v_add_f64 v[138:139], v[64:65], v[8:9]
	v_add_f64 v[84:85], v[70:71], -v[14:15]
	v_add_f64 v[154:155], v[66:67], v[10:11]
	v_add_f64 v[82:83], v[68:69], -v[12:13]
	s_mov_b32 s10, 0x370991
	s_mov_b32 s8, 0x2a9d6da3
	;; [unrolled: 1-line block ×4, first 2 shown]
	v_add_f64 v[80:81], v[68:69], v[12:13]
	v_add_f64 v[92:93], v[74:75], -v[18:19]
	v_add_f64 v[96:97], v[70:71], v[14:15]
	v_add_f64 v[88:89], v[72:73], -v[16:17]
	s_mov_b32 s16, 0x75d4884
	s_mov_b32 s18, 0x7c9e640b
	;; [unrolled: 1-line block ×4, first 2 shown]
	v_add_f64 v[86:87], v[72:73], v[16:17]
	v_add_f64 v[98:99], v[78:79], -v[22:23]
	v_mul_f64 v[146:147], v[142:143], s[0:1]
	v_mul_f64 v[158:159], v[156:157], s[0:1]
	v_add_f64 v[100:101], v[74:75], v[18:19]
	v_add_f64 v[94:95], v[76:77], -v[20:21]
	s_mov_b32 s20, 0x2b2883cd
	v_mul_f64 v[128:129], v[84:85], s[8:9]
	s_mov_b32 s22, 0xeb564b22
	v_mul_f64 v[136:137], v[82:83], s[8:9]
	s_mov_b32 s21, 0x3fdc86fa
	s_mov_b32 s23, 0xbfefdd0d
	v_add_f64 v[90:91], v[76:77], v[20:21]
	v_add_f64 v[102:103], v[78:79], v[22:23]
	v_add_f64 v[112:113], v[62:63], -v[26:27]
	v_mul_f64 v[134:135], v[92:93], s[18:19]
	s_mov_b32 s24, 0x3259b75e
	v_mul_f64 v[150:151], v[88:89], s[18:19]
	s_mov_b32 s40, 0x923c349f
	s_mov_b32 s25, 0x3fb79ee6
	;; [unrolled: 1-line block ×5, first 2 shown]
	v_mul_f64 v[148:149], v[98:99], s[22:23]
	v_fma_f64 v[0:1], v[138:139], s[10:11], v[146:147]
	v_fma_f64 v[2:3], v[154:155], s[10:11], -v[158:159]
	v_add_f64 v[104:105], v[60:61], v[24:25]
	v_mul_f64 v[152:153], v[94:95], s[22:23]
	v_add_f64 v[106:107], v[60:61], -v[24:25]
	v_fma_f64 v[36:37], v[80:81], s[16:17], v[128:129]
	s_mov_b32 s28, 0xc61f0d01
	v_fma_f64 v[38:39], v[96:97], s[16:17], -v[136:137]
	s_mov_b32 s29, 0xbfd183b1
	v_add_f64 v[116:117], v[62:63], v[26:27]
	v_add_f64 v[126:127], v[58:59], -v[30:31]
	s_mov_b32 s34, 0x6c9a05f6
	v_mul_f64 v[160:161], v[112:113], s[30:31]
	v_fma_f64 v[40:41], v[86:87], s[20:21], v[134:135]
	s_mov_b32 s35, 0xbfe9895b
	v_add_f64 v[108:109], v[56:57], v[28:29]
	v_add_f64 v[110:111], v[56:57], -v[28:29]
	s_mov_b32 s26, 0x6ed5f1bb
	s_mov_b32 s27, 0xbfe348c8
	v_add_f64 v[144:145], v[58:59], v[30:31]
	v_add_f64 v[120:121], v[46:47], -v[34:35]
	s_mov_b32 s38, 0x4363dd80
	v_add_f64 v[0:1], v[4:5], v[0:1]
	v_add_f64 v[2:3], v[6:7], v[2:3]
	s_mov_b32 s39, 0x3fe0d888
	s_mov_b32 s49, 0xbfe0d888
	v_mul_f64 v[162:163], v[106:107], s[30:31]
	s_mov_b32 s48, s38
	v_add_f64 v[114:115], v[44:45], v[32:33]
	v_add_f64 v[118:119], v[44:45], -v[32:33]
	s_mov_b32 s36, 0x910ea3b9
	s_mov_b32 s37, 0xbfeb34fa
	v_mul_f64 v[164:165], v[126:127], s[34:35]
	v_add_f64 v[124:125], v[46:47], v[34:35]
	v_add_f64 v[132:133], v[54:55], -v[50:51]
	s_mov_b32 s44, 0xacd6c6b4
	s_mov_b32 s45, 0x3fc7851a
	;; [unrolled: 1-line block ×3, first 2 shown]
	v_mul_f64 v[166:167], v[110:111], s[34:35]
	s_mov_b32 s46, s44
	v_add_f64 v[122:123], v[52:53], v[48:49]
	v_add_f64 v[130:131], v[52:53], -v[48:49]
	v_mul_f64 v[168:169], v[120:121], s[48:49]
	s_mov_b32 s42, 0x7faef3
	v_add_f64 v[0:1], v[36:37], v[0:1]
	v_add_f64 v[2:3], v[38:39], v[2:3]
	v_fma_f64 v[36:37], v[100:101], s[20:21], -v[150:151]
	v_fma_f64 v[38:39], v[90:91], s[24:25], v[148:149]
	s_mov_b32 s43, 0xbfef7484
	v_add_f64 v[140:141], v[54:55], v[50:51]
	v_mul_f64 v[233:234], v[142:143], s[8:9]
	v_mul_f64 v[170:171], v[118:119], s[48:49]
	;; [unrolled: 1-line block ×15, first 2 shown]
	s_mov_b32 s51, 0x3feca52d
	v_add_f64 v[0:1], v[40:41], v[0:1]
	s_mov_b32 s50, s18
	v_add_f64 v[2:3], v[36:37], v[2:3]
	v_fma_f64 v[36:37], v[102:103], s[24:25], -v[152:153]
	v_mul_f64 v[208:209], v[120:121], s[50:51]
	v_mul_f64 v[219:220], v[118:119], s[50:51]
	s_mov_b32 s53, 0x3fd71e95
	s_mov_b32 s52, s0
	v_mul_f64 v[237:238], v[142:143], s[18:19]
	v_mul_f64 v[221:222], v[132:133], s[52:53]
	v_fma_f64 v[40:41], v[96:97], s[24:25], -v[202:203]
	v_mul_f64 v[223:224], v[130:131], s[52:53]
	v_mul_f64 v[172:173], v[84:85], s[34:35]
	;; [unrolled: 1-line block ×6, first 2 shown]
	s_mov_b32 s55, 0x3fe58eea
	s_mov_b32 s54, s8
	v_mul_f64 v[186:187], v[110:111], s[0:1]
	v_mul_f64 v[231:232], v[106:107], s[54:55]
	;; [unrolled: 1-line block ×3, first 2 shown]
	v_add_f64 v[0:1], v[38:39], v[0:1]
	v_fma_f64 v[38:39], v[80:81], s[24:25], v[194:195]
	s_clause 0x1
	s_load_dwordx2 s[6:7], s[4:5], 0x20
	s_load_dwordx2 s[2:3], s[4:5], 0x8
	v_add_f64 v[2:3], v[36:37], v[2:3]
	v_fma_f64 v[36:37], v[104:105], s[28:29], v[160:161]
	s_waitcnt lgkmcnt(0)
	s_barrier
	buffer_gl0_inv
	v_fma_f64 v[174:175], v[96:97], s[26:27], -v[225:226]
	v_add_f64 v[0:1], v[36:37], v[0:1]
	v_fma_f64 v[36:37], v[116:117], s[28:29], -v[162:163]
	v_add_f64 v[2:3], v[36:37], v[2:3]
	v_fma_f64 v[36:37], v[108:109], s[26:27], v[164:165]
	v_add_f64 v[0:1], v[36:37], v[0:1]
	v_fma_f64 v[36:37], v[144:145], s[26:27], -v[166:167]
	v_add_f64 v[2:3], v[36:37], v[2:3]
	v_fma_f64 v[36:37], v[114:115], s[36:37], v[168:169]
	;; [unrolled: 4-line block ×4, first 2 shown]
	v_add_f64 v[36:37], v[4:5], v[36:37]
	v_add_f64 v[36:37], v[38:39], v[36:37]
	v_fma_f64 v[38:39], v[154:155], s[16:17], -v[235:236]
	v_add_f64 v[38:39], v[6:7], v[38:39]
	v_add_f64 v[38:39], v[40:41], v[38:39]
	v_fma_f64 v[40:41], v[86:87], s[26:27], v[196:197]
	v_add_f64 v[36:37], v[40:41], v[36:37]
	v_fma_f64 v[40:41], v[100:101], s[26:27], -v[210:211]
	v_add_f64 v[38:39], v[40:41], v[38:39]
	v_fma_f64 v[40:41], v[90:91], s[42:43], v[200:201]
	v_add_f64 v[36:37], v[40:41], v[36:37]
	v_fma_f64 v[40:41], v[102:103], s[42:43], -v[213:214]
	;; [unrolled: 4-line block ×6, first 2 shown]
	v_add_f64 v[42:43], v[36:37], v[38:39]
	v_fma_f64 v[36:37], v[138:139], s[20:21], v[237:238]
	v_fma_f64 v[38:39], v[80:81], s[26:27], v[172:173]
	v_add_f64 v[36:37], v[4:5], v[36:37]
	v_add_f64 v[36:37], v[38:39], v[36:37]
	v_fma_f64 v[38:39], v[154:155], s[20:21], -v[239:240]
	v_add_f64 v[38:39], v[6:7], v[38:39]
	v_add_f64 v[38:39], v[174:175], v[38:39]
	v_mul_f64 v[174:175], v[92:93], s[44:45]
	v_fma_f64 v[176:177], v[86:87], s[42:43], v[174:175]
	v_add_f64 v[36:37], v[176:177], v[36:37]
	v_fma_f64 v[176:177], v[100:101], s[42:43], -v[227:228]
	v_add_f64 v[38:39], v[176:177], v[38:39]
	v_mul_f64 v[176:177], v[98:99], s[40:41]
	v_fma_f64 v[178:179], v[90:91], s[28:29], v[176:177]
	v_add_f64 v[36:37], v[178:179], v[36:37]
	v_fma_f64 v[178:179], v[102:103], s[28:29], -v[229:230]
	;; [unrolled: 5-line block ×5, first 2 shown]
	v_add_f64 v[38:39], v[184:185], v[38:39]
	v_mul_f64 v[184:185], v[132:133], s[48:49]
	v_fma_f64 v[192:193], v[122:123], s[36:37], v[184:185]
	v_add_f64 v[36:37], v[192:193], v[36:37]
	v_mul_f64 v[192:193], v[130:131], s[48:49]
	v_fma_f64 v[242:243], v[140:141], s[36:37], -v[192:193]
	v_add_f64 v[38:39], v[242:243], v[38:39]
	s_and_saveexec_b32 s33, vcc_lo
	s_cbranch_execz .LBB0_7
; %bb.6:
	v_add_f64 v[64:65], v[4:5], v[64:65]
	v_add_f64 v[66:67], v[6:7], v[66:67]
	s_mov_b32 s5, 0x3fe9895b
	s_mov_b32 s4, s34
	;; [unrolled: 1-line block ×4, first 2 shown]
	v_mul_lo_u16 v0, v255, 17
	v_and_b32_e32 v0, 0xffff, v0
	v_add_lshl_u32 v0, v241, v0, 4
	v_add_f64 v[64:65], v[64:65], v[68:69]
	v_add_f64 v[66:67], v[66:67], v[70:71]
	v_mul_f64 v[70:71], v[138:139], s[10:11]
	v_add_f64 v[64:65], v[64:65], v[72:73]
	v_add_f64 v[66:67], v[66:67], v[74:75]
	v_add_f64 v[70:71], v[70:71], -v[146:147]
	v_add_f64 v[64:65], v[64:65], v[76:77]
	v_add_f64 v[66:67], v[66:67], v[78:79]
	v_add_f64 v[60:61], v[64:65], v[60:61]
	v_add_f64 v[62:63], v[66:67], v[62:63]
	v_add_f64 v[56:57], v[60:61], v[56:57]
	v_add_f64 v[58:59], v[62:63], v[58:59]
	v_add_f64 v[44:45], v[56:57], v[44:45]
	v_add_f64 v[46:47], v[58:59], v[46:47]
	v_mul_f64 v[56:57], v[142:143], s[30:31]
	v_mul_f64 v[58:59], v[142:143], s[22:23]
	v_add_f64 v[44:45], v[44:45], v[52:53]
	v_add_f64 v[46:47], v[46:47], v[54:55]
	v_mul_f64 v[52:53], v[142:143], s[48:49]
	v_mul_f64 v[54:55], v[142:143], s[34:35]
	v_fma_f64 v[66:67], v[138:139], s[28:29], v[56:57]
	v_fma_f64 v[56:57], v[138:139], s[28:29], -v[56:57]
	v_fma_f64 v[68:69], v[138:139], s[24:25], v[58:59]
	v_fma_f64 v[58:59], v[138:139], s[24:25], -v[58:59]
	v_add_f64 v[44:45], v[44:45], v[48:49]
	v_add_f64 v[46:47], v[46:47], v[50:51]
	v_mul_f64 v[50:51], v[142:143], s[46:47]
	v_fma_f64 v[62:63], v[138:139], s[36:37], v[52:53]
	v_fma_f64 v[52:53], v[138:139], s[36:37], -v[52:53]
	v_fma_f64 v[64:65], v[138:139], s[26:27], v[54:55]
	v_fma_f64 v[54:55], v[138:139], s[26:27], -v[54:55]
	v_mul_f64 v[48:49], v[154:155], s[10:11]
	v_add_f64 v[56:57], v[4:5], v[56:57]
	v_add_f64 v[32:33], v[44:45], v[32:33]
	;; [unrolled: 1-line block ×3, first 2 shown]
	v_mul_f64 v[46:47], v[138:139], s[16:17]
	v_fma_f64 v[60:61], v[138:139], s[42:43], v[50:51]
	v_fma_f64 v[50:51], v[138:139], s[42:43], -v[50:51]
	v_mul_f64 v[44:45], v[154:155], s[16:17]
	v_add_f64 v[62:63], v[4:5], v[62:63]
	v_add_f64 v[52:53], v[4:5], v[52:53]
	;; [unrolled: 1-line block ×7, first 2 shown]
	v_mul_f64 v[34:35], v[138:139], s[20:21]
	v_add_f64 v[46:47], v[46:47], -v[233:234]
	v_mul_f64 v[32:33], v[154:155], s[20:21]
	v_add_f64 v[60:61], v[4:5], v[60:61]
	v_add_f64 v[50:51], v[4:5], v[50:51]
	;; [unrolled: 1-line block ×3, first 2 shown]
	v_mul_f64 v[235:236], v[140:141], s[24:25]
	v_add_f64 v[48:49], v[6:7], v[48:49]
	v_add_f64 v[24:25], v[28:29], v[24:25]
	;; [unrolled: 1-line block ×3, first 2 shown]
	v_mul_f64 v[28:29], v[154:155], s[24:25]
	v_add_f64 v[34:35], v[34:35], -v[237:238]
	v_add_f64 v[46:47], v[4:5], v[46:47]
	v_add_f64 v[32:33], v[239:240], v[32:33]
	v_mul_f64 v[237:238], v[132:133], s[56:57]
	v_add_f64 v[44:45], v[6:7], v[44:45]
	v_add_f64 v[20:21], v[24:25], v[20:21]
	;; [unrolled: 1-line block ×3, first 2 shown]
	v_mul_f64 v[24:25], v[154:155], s[28:29]
	v_fma_f64 v[30:31], v[156:157], s[56:57], v[28:29]
	v_add_f64 v[34:35], v[4:5], v[34:35]
	v_fma_f64 v[28:29], v[156:157], s[22:23], v[28:29]
	v_add_f64 v[32:33], v[6:7], v[32:33]
	v_add_f64 v[16:17], v[20:21], v[16:17]
	;; [unrolled: 1-line block ×3, first 2 shown]
	v_mul_f64 v[20:21], v[154:155], s[26:27]
	v_fma_f64 v[26:27], v[156:157], s[40:41], v[24:25]
	v_fma_f64 v[24:25], v[156:157], s[30:31], v[24:25]
	v_add_f64 v[28:29], v[6:7], v[28:29]
	v_add_f64 v[12:13], v[16:17], v[12:13]
	v_mul_f64 v[16:17], v[154:155], s[36:37]
	v_add_f64 v[14:15], v[18:19], v[14:15]
	v_fma_f64 v[22:23], v[156:157], s[4:5], v[20:21]
	v_fma_f64 v[20:21], v[156:157], s[34:35], v[20:21]
	v_add_f64 v[26:27], v[6:7], v[26:27]
	v_add_f64 v[8:9], v[12:13], v[8:9]
	v_mul_f64 v[12:13], v[154:155], s[42:43]
	v_fma_f64 v[18:19], v[156:157], s[38:39], v[16:17]
	v_fma_f64 v[16:17], v[156:157], s[48:49], v[16:17]
	v_add_f64 v[10:11], v[14:15], v[10:11]
	v_add_f64 v[74:75], v[6:7], v[22:23]
	;; [unrolled: 1-line block ×9, first 2 shown]
	v_fma_f64 v[14:15], v[156:157], s[44:45], v[12:13]
	v_fma_f64 v[12:13], v[156:157], s[46:47], v[12:13]
	v_add_f64 v[72:73], v[6:7], v[16:17]
	v_mul_f64 v[16:17], v[96:97], s[10:11]
	v_add_f64 v[18:19], v[6:7], v[18:19]
	v_add_f64 v[14:15], v[6:7], v[14:15]
	;; [unrolled: 1-line block ×3, first 2 shown]
	v_fma_f64 v[4:5], v[82:83], s[0:1], v[16:17]
	v_fma_f64 v[16:17], v[82:83], s[52:53], v[16:17]
	v_add_f64 v[4:5], v[4:5], v[14:15]
	v_mul_f64 v[14:15], v[84:85], s[52:53]
	v_add_f64 v[12:13], v[16:17], v[12:13]
	v_fma_f64 v[6:7], v[80:81], s[10:11], v[14:15]
	v_fma_f64 v[14:15], v[80:81], s[10:11], -v[14:15]
	v_add_f64 v[6:7], v[6:7], v[60:61]
	v_mul_f64 v[60:61], v[100:101], s[36:37]
	v_add_f64 v[14:15], v[14:15], v[50:51]
	v_fma_f64 v[50:51], v[122:123], s[24:25], -v[237:238]
	v_fma_f64 v[68:69], v[88:89], s[38:39], v[60:61]
	v_fma_f64 v[16:17], v[88:89], s[48:49], v[60:61]
	v_mul_f64 v[60:61], v[84:85], s[50:51]
	v_add_f64 v[4:5], v[68:69], v[4:5]
	v_mul_f64 v[68:69], v[92:93], s[48:49]
	v_add_f64 v[12:13], v[16:17], v[12:13]
	v_fma_f64 v[70:71], v[86:87], s[36:37], v[68:69]
	v_fma_f64 v[16:17], v[86:87], s[36:37], -v[68:69]
	v_add_f64 v[6:7], v[70:71], v[6:7]
	v_mul_f64 v[70:71], v[102:103], s[16:17]
	v_add_f64 v[14:15], v[16:17], v[14:15]
	v_fma_f64 v[78:79], v[94:95], s[8:9], v[70:71]
	v_fma_f64 v[16:17], v[94:95], s[54:55], v[70:71]
	v_add_f64 v[4:5], v[78:79], v[4:5]
	v_mul_f64 v[78:79], v[98:99], s[54:55]
	v_add_f64 v[12:13], v[16:17], v[12:13]
	v_fma_f64 v[138:139], v[90:91], s[16:17], v[78:79]
	v_fma_f64 v[16:17], v[90:91], s[16:17], -v[78:79]
	v_add_f64 v[6:7], v[138:139], v[6:7]
	v_mul_f64 v[138:139], v[116:117], s[26:27]
	v_add_f64 v[14:15], v[16:17], v[14:15]
	v_fma_f64 v[142:143], v[106:107], s[4:5], v[138:139]
	v_fma_f64 v[16:17], v[106:107], s[34:35], v[138:139]
	;; [unrolled: 10-line block ×4, first 2 shown]
	v_add_f64 v[4:5], v[158:159], v[4:5]
	v_mul_f64 v[158:159], v[120:121], s[30:31]
	v_add_f64 v[12:13], v[16:17], v[12:13]
	v_fma_f64 v[16:17], v[114:115], s[28:29], -v[158:159]
	v_fma_f64 v[233:234], v[114:115], s[28:29], v[158:159]
	v_add_f64 v[16:17], v[16:17], v[14:15]
	v_fma_f64 v[14:15], v[130:131], s[56:57], v[235:236]
	v_add_f64 v[233:234], v[233:234], v[6:7]
	v_fma_f64 v[6:7], v[130:131], s[22:23], v[235:236]
	v_mul_f64 v[235:236], v[140:141], s[28:29]
	v_add_f64 v[14:15], v[14:15], v[12:13]
	v_add_f64 v[12:13], v[50:51], v[16:17]
	v_mul_f64 v[50:51], v[96:97], s[20:21]
	v_add_f64 v[6:7], v[6:7], v[4:5]
	v_fma_f64 v[4:5], v[122:123], s[24:25], v[237:238]
	v_mul_f64 v[237:238], v[132:133], s[30:31]
	v_fma_f64 v[16:17], v[82:83], s[18:19], v[50:51]
	v_fma_f64 v[50:51], v[82:83], s[50:51], v[50:51]
	v_add_f64 v[4:5], v[4:5], v[233:234]
	v_add_f64 v[16:17], v[16:17], v[18:19]
	v_fma_f64 v[18:19], v[80:81], s[20:21], v[60:61]
	v_fma_f64 v[60:61], v[80:81], s[20:21], -v[60:61]
	v_add_f64 v[50:51], v[50:51], v[72:73]
	v_add_f64 v[18:19], v[18:19], v[62:63]
	v_mul_f64 v[62:63], v[100:101], s[24:25]
	v_add_f64 v[52:53], v[60:61], v[52:53]
	v_fma_f64 v[68:69], v[88:89], s[56:57], v[62:63]
	v_fma_f64 v[60:61], v[88:89], s[22:23], v[62:63]
	v_mul_f64 v[62:63], v[86:87], s[42:43]
	v_add_f64 v[16:17], v[68:69], v[16:17]
	v_mul_f64 v[68:69], v[92:93], s[22:23]
	v_add_f64 v[50:51], v[60:61], v[50:51]
	v_add_f64 v[62:63], v[62:63], -v[174:175]
	v_fma_f64 v[70:71], v[86:87], s[24:25], v[68:69]
	v_fma_f64 v[60:61], v[86:87], s[24:25], -v[68:69]
	v_mul_f64 v[68:69], v[108:109], s[10:11]
	v_add_f64 v[18:19], v[70:71], v[18:19]
	v_mul_f64 v[70:71], v[102:103], s[26:27]
	v_add_f64 v[52:53], v[60:61], v[52:53]
	v_add_f64 v[68:69], v[68:69], -v[180:181]
	v_fma_f64 v[78:79], v[94:95], s[34:35], v[70:71]
	v_fma_f64 v[60:61], v[94:95], s[4:5], v[70:71]
	v_add_f64 v[16:17], v[78:79], v[16:17]
	v_mul_f64 v[78:79], v[98:99], s[4:5]
	v_add_f64 v[50:51], v[60:61], v[50:51]
	v_fma_f64 v[138:139], v[90:91], s[26:27], v[78:79]
	v_fma_f64 v[60:61], v[90:91], s[26:27], -v[78:79]
	v_add_f64 v[18:19], v[138:139], v[18:19]
	v_mul_f64 v[138:139], v[116:117], s[10:11]
	v_add_f64 v[52:53], v[60:61], v[52:53]
	v_fma_f64 v[142:143], v[106:107], s[52:53], v[138:139]
	v_fma_f64 v[60:61], v[106:107], s[0:1], v[138:139]
	v_add_f64 v[16:17], v[142:143], v[16:17]
	v_mul_f64 v[142:143], v[112:113], s[0:1]
	v_add_f64 v[50:51], v[60:61], v[50:51]
	v_fma_f64 v[146:147], v[104:105], s[10:11], v[142:143]
	v_fma_f64 v[60:61], v[104:105], s[10:11], -v[142:143]
	v_add_f64 v[18:19], v[146:147], v[18:19]
	v_mul_f64 v[146:147], v[144:145], s[42:43]
	v_add_f64 v[52:53], v[60:61], v[52:53]
	v_fma_f64 v[154:155], v[110:111], s[44:45], v[146:147]
	v_fma_f64 v[60:61], v[110:111], s[46:47], v[146:147]
	v_add_f64 v[16:17], v[154:155], v[16:17]
	v_mul_f64 v[154:155], v[126:127], s[46:47]
	v_add_f64 v[50:51], v[60:61], v[50:51]
	v_fma_f64 v[156:157], v[108:109], s[42:43], v[154:155]
	v_fma_f64 v[60:61], v[108:109], s[42:43], -v[154:155]
	v_add_f64 v[18:19], v[156:157], v[18:19]
	v_mul_f64 v[156:157], v[124:125], s[16:17]
	v_add_f64 v[52:53], v[60:61], v[52:53]
	v_fma_f64 v[158:159], v[118:119], s[8:9], v[156:157]
	v_fma_f64 v[60:61], v[118:119], s[54:55], v[156:157]
	v_add_f64 v[16:17], v[158:159], v[16:17]
	v_mul_f64 v[158:159], v[120:121], s[54:55]
	v_add_f64 v[50:51], v[60:61], v[50:51]
	v_fma_f64 v[233:234], v[114:115], s[16:17], v[158:159]
	v_fma_f64 v[60:61], v[114:115], s[16:17], -v[158:159]
	v_add_f64 v[233:234], v[233:234], v[18:19]
	v_fma_f64 v[18:19], v[130:131], s[40:41], v[235:236]
	v_add_f64 v[52:53], v[60:61], v[52:53]
	v_mul_f64 v[60:61], v[80:81], s[26:27]
	v_add_f64 v[18:19], v[18:19], v[16:17]
	v_fma_f64 v[16:17], v[122:123], s[28:29], v[237:238]
	v_add_f64 v[60:61], v[60:61], -v[172:173]
	v_add_f64 v[16:17], v[16:17], v[233:234]
	v_mul_f64 v[233:234], v[96:97], s[16:17]
	v_add_f64 v[34:35], v[60:61], v[34:35]
	v_mul_f64 v[60:61], v[90:91], s[28:29]
	;; [unrolled: 2-line block ×3, first 2 shown]
	v_add_f64 v[60:61], v[60:61], -v[176:177]
	v_add_f64 v[34:35], v[62:63], v[34:35]
	v_mul_f64 v[62:63], v[104:105], s[16:17]
	v_add_f64 v[48:49], v[136:137], v[48:49]
	v_add_f64 v[128:129], v[233:234], -v[128:129]
	v_mul_f64 v[233:234], v[100:101], s[20:21]
	v_add_f64 v[34:35], v[60:61], v[34:35]
	v_mul_f64 v[60:61], v[144:145], s[10:11]
	v_add_f64 v[62:63], v[62:63], -v[178:179]
	v_add_f64 v[58:59], v[128:129], v[58:59]
	v_add_f64 v[150:151], v[150:151], v[233:234]
	v_mul_f64 v[233:234], v[86:87], s[20:21]
	v_add_f64 v[60:61], v[186:187], v[60:61]
	v_add_f64 v[34:35], v[62:63], v[34:35]
	v_mul_f64 v[62:63], v[124:125], s[24:25]
	v_add_f64 v[48:49], v[150:151], v[48:49]
	v_add_f64 v[134:135], v[233:234], -v[134:135]
	v_mul_f64 v[233:234], v[102:103], s[24:25]
	v_add_f64 v[34:35], v[68:69], v[34:35]
	v_add_f64 v[62:63], v[188:189], v[62:63]
	v_mul_f64 v[68:69], v[140:141], s[36:37]
	v_add_f64 v[58:59], v[134:135], v[58:59]
	v_add_f64 v[152:153], v[152:153], v[233:234]
	;; [unrolled: 3-line block ×3, first 2 shown]
	v_add_f64 v[148:149], v[233:234], -v[148:149]
	v_mul_f64 v[233:234], v[116:117], s[28:29]
	v_add_f64 v[58:59], v[148:149], v[58:59]
	v_add_f64 v[162:163], v[162:163], v[233:234]
	v_mul_f64 v[233:234], v[104:105], s[28:29]
	v_add_f64 v[48:49], v[162:163], v[48:49]
	v_add_f64 v[160:161], v[233:234], -v[160:161]
	v_mul_f64 v[233:234], v[144:145], s[26:27]
	v_add_f64 v[58:59], v[160:161], v[58:59]
	v_add_f64 v[166:167], v[166:167], v[233:234]
	v_mul_f64 v[233:234], v[108:109], s[26:27]
	v_add_f64 v[48:49], v[166:167], v[48:49]
	;; [unrolled: 6-line block ×3, first 2 shown]
	v_add_f64 v[168:169], v[233:234], -v[168:169]
	v_mul_f64 v[233:234], v[140:141], s[42:43]
	v_add_f64 v[58:59], v[168:169], v[58:59]
	v_add_f64 v[198:199], v[198:199], v[233:234]
	v_mul_f64 v[233:234], v[122:123], s[42:43]
	v_add_f64 v[190:191], v[233:234], -v[190:191]
	v_mul_f64 v[233:234], v[96:97], s[24:25]
	v_add_f64 v[202:203], v[202:203], v[233:234]
	v_mul_f64 v[233:234], v[80:81], s[24:25]
	v_add_f64 v[44:45], v[202:203], v[44:45]
	v_add_f64 v[194:195], v[233:234], -v[194:195]
	v_mul_f64 v[233:234], v[100:101], s[26:27]
	v_add_f64 v[46:47], v[194:195], v[46:47]
	v_add_f64 v[210:211], v[210:211], v[233:234]
	v_mul_f64 v[233:234], v[86:87], s[26:27]
	v_add_f64 v[44:45], v[210:211], v[44:45]
	v_add_f64 v[196:197], v[233:234], -v[196:197]
	v_mul_f64 v[233:234], v[102:103], s[42:43]
	v_add_f64 v[46:47], v[196:197], v[46:47]
	;; [unrolled: 6-line block ×6, first 2 shown]
	v_add_f64 v[223:224], v[223:224], v[233:234]
	v_mul_f64 v[233:234], v[122:123], s[10:11]
	v_add_f64 v[221:222], v[233:234], -v[221:222]
	v_mul_f64 v[233:234], v[96:97], s[26:27]
	v_add_f64 v[225:226], v[225:226], v[233:234]
	v_mul_f64 v[233:234], v[100:101], s[42:43]
	v_add_f64 v[32:33], v[225:226], v[32:33]
	v_add_f64 v[227:228], v[227:228], v[233:234]
	v_mul_f64 v[233:234], v[116:117], s[16:17]
	v_add_f64 v[32:33], v[227:228], v[32:33]
	;; [unrolled: 3-line block ×3, first 2 shown]
	v_add_f64 v[32:33], v[229:230], v[32:33]
	v_add_f64 v[32:33], v[231:232], v[32:33]
	;; [unrolled: 1-line block ×3, first 2 shown]
	v_mul_f64 v[60:61], v[114:115], s[24:25]
	v_add_f64 v[32:33], v[62:63], v[32:33]
	v_add_f64 v[60:61], v[60:61], -v[182:183]
	v_mul_f64 v[62:63], v[122:123], s[36:37]
	v_add_f64 v[60:61], v[60:61], v[34:35]
	v_mul_f64 v[34:35], v[96:97], s[42:43]
	v_add_f64 v[62:63], v[62:63], -v[184:185]
	v_fma_f64 v[70:71], v[82:83], s[46:47], v[34:35]
	v_add_f64 v[28:29], v[70:71], v[28:29]
	v_mul_f64 v[70:71], v[100:101], s[28:29]
	v_fma_f64 v[72:73], v[88:89], s[40:41], v[70:71]
	v_fma_f64 v[70:71], v[88:89], s[30:31], v[70:71]
	v_add_f64 v[28:29], v[72:73], v[28:29]
	v_mul_f64 v[72:73], v[84:85], s[46:47]
	v_fma_f64 v[78:79], v[80:81], s[42:43], -v[72:73]
	v_add_f64 v[30:31], v[78:79], v[30:31]
	v_mul_f64 v[78:79], v[102:103], s[10:11]
	v_fma_f64 v[128:129], v[94:95], s[52:53], v[78:79]
	v_add_f64 v[28:29], v[128:129], v[28:29]
	v_mul_f64 v[128:129], v[92:93], s[40:41]
	v_fma_f64 v[134:135], v[86:87], s[28:29], -v[128:129]
	v_add_f64 v[30:31], v[134:135], v[30:31]
	v_mul_f64 v[134:135], v[98:99], s[52:53]
	v_fma_f64 v[136:137], v[90:91], s[10:11], -v[134:135]
	v_add_f64 v[30:31], v[136:137], v[30:31]
	v_mul_f64 v[136:137], v[116:117], s[20:21]
	v_fma_f64 v[138:139], v[106:107], s[18:19], v[136:137]
	v_add_f64 v[28:29], v[138:139], v[28:29]
	v_mul_f64 v[138:139], v[112:113], s[18:19]
	v_fma_f64 v[142:143], v[104:105], s[20:21], -v[138:139]
	v_add_f64 v[30:31], v[142:143], v[30:31]
	v_mul_f64 v[142:143], v[144:145], s[36:37]
	v_fma_f64 v[146:147], v[110:111], s[48:49], v[142:143]
	v_add_f64 v[28:29], v[146:147], v[28:29]
	v_mul_f64 v[146:147], v[126:127], s[48:49]
	v_fma_f64 v[148:149], v[108:109], s[36:37], -v[146:147]
	v_add_f64 v[30:31], v[148:149], v[30:31]
	v_mul_f64 v[148:149], v[124:125], s[26:27]
	v_fma_f64 v[150:151], v[118:119], s[4:5], v[148:149]
	v_add_f64 v[150:151], v[150:151], v[28:29]
	v_mul_f64 v[28:29], v[120:121], s[4:5]
	v_fma_f64 v[152:153], v[114:115], s[26:27], -v[28:29]
	v_fma_f64 v[28:29], v[114:115], s[26:27], v[28:29]
	v_add_f64 v[152:153], v[152:153], v[30:31]
	v_mul_f64 v[30:31], v[96:97], s[36:37]
	v_mul_f64 v[96:97], v[96:97], s[28:29]
	v_fma_f64 v[154:155], v[82:83], s[38:39], v[30:31]
	v_fma_f64 v[30:31], v[82:83], s[48:49], v[30:31]
	v_add_f64 v[66:67], v[154:155], v[66:67]
	v_mul_f64 v[154:155], v[100:101], s[16:17]
	v_mul_f64 v[100:101], v[100:101], s[10:11]
	v_add_f64 v[26:27], v[30:31], v[26:27]
	v_fma_f64 v[156:157], v[88:89], s[54:55], v[154:155]
	v_fma_f64 v[30:31], v[88:89], s[8:9], v[154:155]
	v_add_f64 v[66:67], v[156:157], v[66:67]
	v_mul_f64 v[156:157], v[102:103], s[20:21]
	v_mul_f64 v[102:103], v[102:103], s[36:37]
	v_add_f64 v[26:27], v[30:31], v[26:27]
	v_fma_f64 v[158:159], v[94:95], s[18:19], v[156:157]
	v_fma_f64 v[30:31], v[94:95], s[50:51], v[156:157]
	v_add_f64 v[66:67], v[158:159], v[66:67]
	v_mul_f64 v[158:159], v[84:85], s[38:39]
	v_add_f64 v[26:27], v[30:31], v[26:27]
	v_mul_f64 v[84:85], v[84:85], s[40:41]
	v_fma_f64 v[160:161], v[80:81], s[36:37], -v[158:159]
	v_add_f64 v[56:57], v[160:161], v[56:57]
	v_mul_f64 v[160:161], v[92:93], s[54:55]
	v_mul_f64 v[92:93], v[92:93], s[0:1]
	v_fma_f64 v[162:163], v[86:87], s[16:17], -v[160:161]
	v_add_f64 v[56:57], v[162:163], v[56:57]
	v_mul_f64 v[162:163], v[116:117], s[42:43]
	v_mul_f64 v[116:117], v[116:117], s[24:25]
	v_fma_f64 v[164:165], v[106:107], s[46:47], v[162:163]
	v_fma_f64 v[30:31], v[106:107], s[44:45], v[162:163]
	v_add_f64 v[66:67], v[164:165], v[66:67]
	v_mul_f64 v[164:165], v[98:99], s[18:19]
	v_add_f64 v[26:27], v[30:31], v[26:27]
	v_fma_f64 v[30:31], v[82:83], s[44:45], v[34:35]
	v_fma_f64 v[34:35], v[80:81], s[36:37], v[158:159]
	v_mul_f64 v[98:99], v[98:99], s[48:49]
	v_fma_f64 v[166:167], v[90:91], s[20:21], -v[164:165]
	v_add_f64 v[24:25], v[30:31], v[24:25]
	v_add_f64 v[22:23], v[34:35], v[22:23]
	v_fma_f64 v[34:35], v[80:81], s[42:43], v[72:73]
	v_fma_f64 v[30:31], v[86:87], s[16:17], v[160:161]
	v_add_f64 v[56:57], v[166:167], v[56:57]
	v_mul_f64 v[166:167], v[144:145], s[24:25]
	v_mul_f64 v[144:145], v[144:145], s[16:17]
	v_add_f64 v[24:25], v[70:71], v[24:25]
	v_add_f64 v[20:21], v[34:35], v[20:21]
	;; [unrolled: 1-line block ×3, first 2 shown]
	v_fma_f64 v[30:31], v[86:87], s[28:29], v[128:129]
	v_fma_f64 v[34:35], v[94:95], s[0:1], v[78:79]
	;; [unrolled: 1-line block ×5, first 2 shown]
	v_add_f64 v[20:21], v[30:31], v[20:21]
	v_fma_f64 v[30:31], v[90:91], s[10:11], v[134:135]
	v_add_f64 v[22:23], v[70:71], v[22:23]
	v_add_f64 v[24:25], v[34:35], v[24:25]
	v_fma_f64 v[70:71], v[106:107], s[50:51], v[136:137]
	v_add_f64 v[66:67], v[168:169], v[66:67]
	v_mul_f64 v[168:169], v[112:113], s[46:47]
	v_mul_f64 v[112:113], v[112:113], s[56:57]
	v_add_f64 v[26:27], v[72:73], v[26:27]
	v_mul_f64 v[72:73], v[132:133], s[54:55]
	v_add_f64 v[20:21], v[30:31], v[20:21]
	v_add_f64 v[24:25], v[70:71], v[24:25]
	v_mul_f64 v[70:71], v[120:121], s[0:1]
	v_fma_f64 v[170:171], v[104:105], s[42:43], -v[168:169]
	v_fma_f64 v[34:35], v[104:105], s[42:43], v[168:169]
	v_add_f64 v[56:57], v[170:171], v[56:57]
	v_mul_f64 v[170:171], v[126:127], s[56:57]
	v_mul_f64 v[126:127], v[126:127], s[8:9]
	v_add_f64 v[22:23], v[34:35], v[22:23]
	v_fma_f64 v[34:35], v[104:105], s[20:21], v[138:139]
	v_fma_f64 v[172:173], v[108:109], s[24:25], -v[170:171]
	v_fma_f64 v[30:31], v[108:109], s[16:17], v[126:127]
	v_fma_f64 v[78:79], v[108:109], s[24:25], v[170:171]
	v_add_f64 v[20:21], v[34:35], v[20:21]
	v_add_f64 v[56:57], v[172:173], v[56:57]
	v_fma_f64 v[172:173], v[82:83], s[40:41], v[96:97]
	v_fma_f64 v[96:97], v[82:83], s[30:31], v[96:97]
	v_mul_f64 v[82:83], v[124:125], s[10:11]
	v_add_f64 v[22:23], v[78:79], v[22:23]
	v_add_f64 v[76:77], v[172:173], v[76:77]
	v_fma_f64 v[172:173], v[88:89], s[0:1], v[100:101]
	v_add_f64 v[74:75], v[96:97], v[74:75]
	v_fma_f64 v[96:97], v[88:89], s[52:53], v[100:101]
	v_fma_f64 v[88:89], v[108:109], s[36:37], v[146:147]
	;; [unrolled: 1-line block ×3, first 2 shown]
	v_mul_f64 v[100:101], v[132:133], s[50:51]
	v_fma_f64 v[82:83], v[118:119], s[52:53], v[82:83]
	v_add_f64 v[76:77], v[172:173], v[76:77]
	v_fma_f64 v[172:173], v[94:95], s[48:49], v[102:103]
	v_add_f64 v[74:75], v[96:97], v[74:75]
	v_fma_f64 v[96:97], v[94:95], s[38:39], v[102:103]
	v_mul_f64 v[94:95], v[140:141], s[26:27]
	v_add_f64 v[20:21], v[88:89], v[20:21]
	v_add_f64 v[66:67], v[78:79], v[66:67]
	v_fma_f64 v[78:79], v[122:123], s[16:17], -v[72:73]
	v_fma_f64 v[102:103], v[130:131], s[30:31], v[235:236]
	v_add_f64 v[82:83], v[82:83], v[26:27]
	v_fma_f64 v[72:73], v[122:123], s[16:17], v[72:73]
	v_add_f64 v[26:27], v[198:199], v[48:49]
	v_add_f64 v[76:77], v[172:173], v[76:77]
	v_fma_f64 v[172:173], v[106:107], s[56:57], v[116:117]
	v_add_f64 v[74:75], v[96:97], v[74:75]
	v_fma_f64 v[96:97], v[106:107], s[22:23], v[116:117]
	v_add_f64 v[76:77], v[172:173], v[76:77]
	v_fma_f64 v[172:173], v[110:111], s[8:9], v[144:145]
	v_add_f64 v[74:75], v[96:97], v[74:75]
	v_fma_f64 v[96:97], v[110:111], s[54:55], v[144:145]
	v_add_f64 v[76:77], v[172:173], v[76:77]
	v_fma_f64 v[172:173], v[80:81], s[28:29], -v[84:85]
	v_fma_f64 v[84:85], v[80:81], s[28:29], v[84:85]
	v_fma_f64 v[80:81], v[110:111], s[38:39], v[142:143]
	v_add_f64 v[74:75], v[96:97], v[74:75]
	v_mul_f64 v[96:97], v[132:133], s[34:35]
	v_add_f64 v[54:55], v[172:173], v[54:55]
	v_add_f64 v[64:65], v[84:85], v[64:65]
	v_fma_f64 v[84:85], v[86:87], s[10:11], v[92:93]
	v_fma_f64 v[172:173], v[86:87], s[10:11], -v[92:93]
	v_mul_f64 v[86:87], v[120:121], s[46:47]
	v_add_f64 v[24:25], v[80:81], v[24:25]
	v_fma_f64 v[92:93], v[118:119], s[34:35], v[148:149]
	v_fma_f64 v[106:107], v[122:123], s[26:27], -v[96:97]
	v_fma_f64 v[96:97], v[122:123], s[26:27], v[96:97]
	v_add_f64 v[64:65], v[84:85], v[64:65]
	v_fma_f64 v[84:85], v[90:91], s[36:37], v[98:99]
	v_add_f64 v[54:55], v[172:173], v[54:55]
	v_fma_f64 v[172:173], v[90:91], s[36:37], -v[98:99]
	v_fma_f64 v[90:91], v[114:115], s[10:11], -v[70:71]
	;; [unrolled: 1-line block ×3, first 2 shown]
	v_mul_f64 v[98:99], v[140:141], s[20:21]
	v_fma_f64 v[86:87], v[114:115], s[42:43], v[86:87]
	v_fma_f64 v[70:71], v[114:115], s[10:11], v[70:71]
	v_add_f64 v[92:93], v[92:93], v[24:25]
	v_add_f64 v[24:25], v[190:191], v[58:59]
	;; [unrolled: 1-line block ×3, first 2 shown]
	v_fma_f64 v[84:85], v[104:105], s[24:25], v[112:113]
	v_add_f64 v[54:55], v[172:173], v[54:55]
	v_fma_f64 v[172:173], v[104:105], s[24:25], -v[112:113]
	v_add_f64 v[56:57], v[90:91], v[56:57]
	v_fma_f64 v[90:91], v[130:131], s[34:35], v[94:95]
	v_fma_f64 v[104:105], v[122:123], s[28:29], -v[237:238]
	v_add_f64 v[70:71], v[70:71], v[22:23]
	v_fma_f64 v[94:95], v[130:131], s[4:5], v[94:95]
	v_add_f64 v[22:23], v[102:103], v[50:51]
	v_add_f64 v[64:65], v[84:85], v[64:65]
	v_mul_f64 v[84:85], v[124:125], s[42:43]
	v_add_f64 v[54:55], v[172:173], v[54:55]
	v_fma_f64 v[172:173], v[108:109], s[16:17], -v[126:127]
	v_add_f64 v[108:109], v[28:29], v[20:21]
	v_add_f64 v[28:29], v[221:222], v[46:47]
	;; [unrolled: 1-line block ×6, first 2 shown]
	v_mul_f64 v[64:65], v[140:141], s[16:17]
	v_fma_f64 v[34:35], v[118:119], s[46:47], v[84:85]
	v_add_f64 v[54:55], v[172:173], v[54:55]
	v_fma_f64 v[84:85], v[118:119], s[44:45], v[84:85]
	v_add_f64 v[86:87], v[86:87], v[30:31]
	;; [unrolled: 2-line block ×3, first 2 shown]
	v_add_f64 v[80:81], v[80:81], v[54:55]
	v_fma_f64 v[54:55], v[130:131], s[50:51], v[98:99]
	v_add_f64 v[74:75], v[84:85], v[74:75]
	v_fma_f64 v[84:85], v[122:123], s[20:21], -v[100:101]
	v_fma_f64 v[98:99], v[130:131], s[18:19], v[98:99]
	v_fma_f64 v[100:101], v[122:123], s[20:21], v[100:101]
	;; [unrolled: 1-line block ×3, first 2 shown]
	v_add_f64 v[30:31], v[223:224], v[44:45]
	v_add_f64 v[34:35], v[68:69], v[32:33]
	v_add_f64 v[32:33], v[62:63], v[60:61]
	v_add_f64 v[44:45], v[78:79], v[152:153]
	v_add_f64 v[62:63], v[94:95], v[82:83]
	v_add_f64 v[60:61], v[96:97], v[70:71]
	v_add_f64 v[46:47], v[88:89], v[150:151]
	v_add_f64 v[54:55], v[54:55], v[76:77]
	v_add_f64 v[52:53], v[84:85], v[80:81]
	v_add_f64 v[58:59], v[98:99], v[74:75]
	v_add_f64 v[56:57], v[100:101], v[86:87]
	v_add_f64 v[66:67], v[64:65], v[92:93]
	v_add_f64 v[64:65], v[72:73], v[108:109]
	ds_write_b128 v0, v[8:11]
	ds_write_b128 v0, v[24:27] offset:16
	ds_write_b128 v0, v[28:31] offset:32
	;; [unrolled: 1-line block ×16, first 2 shown]
.LBB0_7:
	s_or_b32 exec_lo, exec_lo, s33
	v_add_lshl_u32 v6, v241, v255, 4
	s_waitcnt lgkmcnt(0)
	s_barrier
	buffer_gl0_inv
	v_cmp_gt_u16_e64 s0, 17, v255
	ds_read_b128 v[44:47], v6
	ds_read_b128 v[48:51], v6 offset:544
	ds_read_b128 v[72:75], v6 offset:4624
	;; [unrolled: 1-line block ×13, first 2 shown]
	s_and_saveexec_b32 s1, s0
	s_cbranch_execz .LBB0_9
; %bb.8:
	ds_read_b128 v[36:39], v6 offset:3808
	ds_read_b128 v[40:43], v6 offset:7888
.LBB0_9:
	s_or_b32 exec_lo, exec_lo, s1
	v_add_co_u32 v100, s1, v255, 34
	v_add_co_ci_u32_e64 v101, null, 0, 0, s1
	v_add_co_u32 v1, s1, 0xffffffef, v255
	v_and_b32_e32 v0, 0xff, v100
	v_add_co_ci_u32_e64 v2, null, 0, -1, s1
	v_cndmask_b32_e64 v106, v1, v255, s0
	v_add_co_u32 v102, s1, 0x44, v255
	v_mul_lo_u16 v0, 0xf1, v0
	v_cndmask_b32_e64 v107, v2, 0, s0
	v_mov_b32_e32 v1, 4
	v_add_co_ci_u32_e64 v103, null, 0, 0, s1
	v_lshrrev_b16 v0, 12, v0
	v_lshlrev_b64 v[7:8], 4, v[106:107]
	v_add_nc_u16 v4, v255, 0x66
	v_add_nc_u16 v5, v255, 0x88
	;; [unrolled: 1-line block ×3, first 2 shown]
	v_mul_lo_u16 v2, v0, 17
	v_and_b32_e32 v9, 0xff, v102
	v_add_co_u32 v7, s1, s2, v7
	v_add_co_ci_u32_e64 v8, s1, s3, v8, s1
	v_sub_nc_u16 v2, v100, v2
	v_and_b32_e32 v10, 0xff, v4
	v_and_b32_e32 v12, 0xff, v5
	v_mul_lo_u16 v105, 0xf1, v9
	v_and_b32_e32 v9, 0xff, v3
	v_lshlrev_b32_sdwa v11, v1, v2 dst_sel:DWORD dst_unused:UNUSED_PAD src0_sel:DWORD src1_sel:BYTE_0
	s_clause 0x1
	global_load_dwordx4 v[139:142], v[7:8], off
	global_load_dwordx4 v[135:138], v11, s[2:3]
	v_add_nc_u16 v8, v255, 0xcc
	v_mul_lo_u16 v104, 0xf1, v10
	v_mul_lo_u16 v7, 0xf1, v12
	v_lshrrev_b16 v10, 12, v105
	v_mul_lo_u16 v9, 0xf1, v9
	v_and_b32_e32 v12, 0xff, v8
	v_lshrrev_b16 v11, 12, v104
	v_lshrrev_b16 v13, 12, v7
	v_mul_lo_u16 v14, v10, 17
	v_lshrrev_b16 v9, 12, v9
	v_mul_lo_u16 v12, 0xf1, v12
	v_mul_lo_u16 v15, v11, 17
	;; [unrolled: 1-line block ×3, first 2 shown]
	v_sub_nc_u16 v14, v102, v14
	v_mul_lo_u16 v17, v9, 17
	v_lshrrev_b16 v12, 12, v12
	v_sub_nc_u16 v15, v4, v15
	v_sub_nc_u16 v16, v5, v16
	v_lshlrev_b32_sdwa v18, v1, v14 dst_sel:DWORD dst_unused:UNUSED_PAD src0_sel:DWORD src1_sel:BYTE_0
	v_sub_nc_u16 v3, v3, v17
	v_mul_lo_u16 v20, v12, 17
	v_add_nc_u32_e32 v17, 0xee, v255
	v_mov_b32_e32 v22, 0xf0f1
	v_lshlrev_b32_sdwa v19, v1, v15 dst_sel:DWORD dst_unused:UNUSED_PAD src0_sel:DWORD src1_sel:BYTE_0
	v_lshlrev_b32_sdwa v21, v1, v16 dst_sel:DWORD dst_unused:UNUSED_PAD src0_sel:DWORD src1_sel:BYTE_0
	v_sub_nc_u16 v8, v8, v20
	s_clause 0x1
	global_load_dwordx4 v[147:150], v18, s[2:3]
	global_load_dwordx4 v[143:146], v19, s[2:3]
	v_mul_u32_u24_sdwa v19, v17, v22 dst_sel:DWORD dst_unused:UNUSED_PAD src0_sel:WORD_0 src1_sel:DWORD
	v_lshlrev_b32_sdwa v18, v1, v3 dst_sel:DWORD dst_unused:UNUSED_PAD src0_sel:DWORD src1_sel:BYTE_0
	v_lshlrev_b32_sdwa v1, v1, v8 dst_sel:DWORD dst_unused:UNUSED_PAD src0_sel:DWORD src1_sel:BYTE_0
	s_clause 0x1
	global_load_dwordx4 v[32:35], v21, s[2:3]
	global_load_dwordx4 v[23:26], v18, s[2:3]
	v_lshrrev_b32_e32 v18, 20, v19
	global_load_dwordx4 v[28:31], v1, s[2:3]
	v_cmp_lt_u16_e64 s1, 16, v255
	s_load_dwordx4 s[4:7], s[6:7], 0x0
	v_mad_u16 v0, v0, 34, v2
	v_mul_lo_u16 v1, v18, 17
	v_and_b32_e32 v0, 0xff, v0
	v_sub_nc_u16 v1, v17, v1
	v_mov_b32_e32 v17, 34
	v_and_b32_e32 v1, 0xffff, v1
	v_mul_u32_u24_sdwa v9, v9, v17 dst_sel:DWORD dst_unused:UNUSED_PAD src0_sel:WORD_0 src1_sel:DWORD
	v_mul_u32_u24_sdwa v12, v12, v17 dst_sel:DWORD dst_unused:UNUSED_PAD src0_sel:WORD_0 src1_sel:DWORD
	buffer_store_dword v1, off, s[60:63], 0 offset:4 ; 4-byte Folded Spill
	v_lshlrev_b32_e32 v1, 4, v1
	v_add_nc_u32_sdwa v3, v9, v3 dst_sel:DWORD dst_unused:UNUSED_PAD src0_sel:DWORD src1_sel:BYTE_0
	v_add_nc_u32_sdwa v8, v12, v8 dst_sel:DWORD dst_unused:UNUSED_PAD src0_sel:DWORD src1_sel:BYTE_0
	global_load_dwordx4 v[18:21], v1, s[2:3]
	v_cndmask_b32_e64 v1, 0, 34, s1
	v_add_nc_u32_e32 v1, v106, v1
	v_add_lshl_u32 v22, v241, v1, 4
	v_mul_u32_u24_sdwa v1, v10, v17 dst_sel:DWORD dst_unused:UNUSED_PAD src0_sel:WORD_0 src1_sel:DWORD
	v_mul_u32_u24_sdwa v10, v11, v17 dst_sel:DWORD dst_unused:UNUSED_PAD src0_sel:WORD_0 src1_sel:DWORD
	;; [unrolled: 1-line block ×3, first 2 shown]
	v_add_nc_u32_sdwa v1, v1, v14 dst_sel:DWORD dst_unused:UNUSED_PAD src0_sel:DWORD src1_sel:BYTE_0
	v_add_nc_u32_sdwa v2, v10, v15 dst_sel:DWORD dst_unused:UNUSED_PAD src0_sel:DWORD src1_sel:BYTE_0
	;; [unrolled: 1-line block ×3, first 2 shown]
	v_add_lshl_u32 v11, v241, v1, 4
	v_add_lshl_u32 v9, v241, v2, 4
	;; [unrolled: 1-line block ×6, first 2 shown]
	s_waitcnt vmcnt(7) lgkmcnt(0)
	v_mul_f64 v[107:108], v[98:99], v[141:142]
	s_waitcnt vmcnt(6)
	v_mul_f64 v[111:112], v[74:75], v[137:138]
	v_mul_f64 v[109:110], v[96:97], v[141:142]
	;; [unrolled: 1-line block ×3, first 2 shown]
	v_fma_f64 v[96:97], v[96:97], v[139:140], -v[107:108]
	buffer_store_dword v139, off, s[60:63], 0 offset:24 ; 4-byte Folded Spill
	buffer_store_dword v140, off, s[60:63], 0 offset:28 ; 4-byte Folded Spill
	;; [unrolled: 1-line block ×4, first 2 shown]
	v_fma_f64 v[106:107], v[72:73], v[135:136], -v[111:112]
	buffer_store_dword v135, off, s[60:63], 0 offset:8 ; 4-byte Folded Spill
	buffer_store_dword v136, off, s[60:63], 0 offset:12 ; 4-byte Folded Spill
	;; [unrolled: 1-line block ×4, first 2 shown]
	s_waitcnt vmcnt(5)
	v_mul_f64 v[115:116], v[78:79], v[149:150]
	s_waitcnt vmcnt(4)
	v_mul_f64 v[119:120], v[82:83], v[145:146]
	v_mul_f64 v[117:118], v[76:77], v[149:150]
	;; [unrolled: 1-line block ×3, first 2 shown]
	s_waitcnt vmcnt(3)
	v_mul_f64 v[125:126], v[84:85], v[34:35]
	s_waitcnt vmcnt(2)
	v_mul_f64 v[127:128], v[94:95], v[25:26]
	v_mul_f64 v[129:130], v[92:93], v[25:26]
	;; [unrolled: 1-line block ×3, first 2 shown]
	s_waitcnt vmcnt(1)
	v_mul_f64 v[131:132], v[90:91], v[30:31]
	v_mul_f64 v[133:134], v[88:89], v[30:31]
	v_add_f64 v[72:73], v[44:45], -v[96:97]
	v_fma_f64 v[92:93], v[92:93], v[23:24], -v[127:128]
	v_add_f64 v[92:93], v[60:61], -v[92:93]
	v_fma_f64 v[60:61], v[60:61], 2.0, -v[92:93]
	v_fma_f64 v[98:99], v[98:99], v[139:140], v[109:110]
	v_fma_f64 v[110:111], v[76:77], v[147:148], -v[115:116]
	v_fma_f64 v[108:109], v[74:75], v[135:136], v[113:114]
	buffer_store_dword v147, off, s[60:63], 0 offset:56 ; 4-byte Folded Spill
	buffer_store_dword v148, off, s[60:63], 0 offset:60 ; 4-byte Folded Spill
	;; [unrolled: 1-line block ×4, first 2 shown]
	v_fma_f64 v[114:115], v[80:81], v[143:144], -v[119:120]
	buffer_store_dword v143, off, s[60:63], 0 offset:40 ; 4-byte Folded Spill
	buffer_store_dword v144, off, s[60:63], 0 offset:44 ; 4-byte Folded Spill
	;; [unrolled: 1-line block ×8, first 2 shown]
	v_add_f64 v[76:77], v[48:49], -v[106:107]
	v_add_f64 v[74:75], v[46:47], -v[98:99]
	;; [unrolled: 1-line block ×3, first 2 shown]
	v_fma_f64 v[112:113], v[78:79], v[147:148], v[117:118]
	v_fma_f64 v[118:119], v[84:85], v[32:33], -v[123:124]
	v_fma_f64 v[116:117], v[82:83], v[143:144], v[121:122]
	v_fma_f64 v[120:121], v[86:87], v[32:33], v[125:126]
	s_waitcnt vmcnt(0)
	v_mul_f64 v[126:127], v[42:43], v[20:21]
	v_fma_f64 v[94:95], v[94:95], v[23:24], v[129:130]
	v_mul_f64 v[128:129], v[40:41], v[20:21]
	v_fma_f64 v[122:123], v[88:89], v[28:29], -v[131:132]
	v_fma_f64 v[124:125], v[90:91], v[28:29], v[133:134]
	v_add_f64 v[78:79], v[50:51], -v[108:109]
	v_add_f64 v[84:85], v[52:53], -v[114:115]
	;; [unrolled: 1-line block ×6, first 2 shown]
	v_fma_f64 v[106:107], v[40:41], v[18:19], -v[126:127]
	buffer_store_dword v18, off, s[60:63], 0 offset:132 ; 4-byte Folded Spill
	buffer_store_dword v19, off, s[60:63], 0 offset:136 ; 4-byte Folded Spill
	;; [unrolled: 1-line block ×4, first 2 shown]
	v_add_f64 v[94:95], v[62:63], -v[94:95]
	v_add_f64 v[96:97], v[68:69], -v[122:123]
	;; [unrolled: 1-line block ×3, first 2 shown]
	v_fma_f64 v[40:41], v[44:45], 2.0, -v[72:73]
	v_fma_f64 v[44:45], v[48:49], 2.0, -v[76:77]
	;; [unrolled: 1-line block ×4, first 2 shown]
	s_waitcnt_vscnt null, 0x0
	s_barrier
	buffer_gl0_inv
	ds_write_b128 v22, v[72:75] offset:272
	buffer_store_dword v22, off, s[60:63], 0 offset:72 ; 4-byte Folded Spill
	v_fma_f64 v[56:57], v[64:65], 2.0, -v[88:89]
	v_fma_f64 v[54:55], v[54:55], 2.0, -v[86:87]
	v_add_f64 v[116:117], v[36:37], -v[106:107]
	v_fma_f64 v[62:63], v[62:63], 2.0, -v[94:95]
	v_fma_f64 v[64:65], v[68:69], 2.0, -v[96:97]
	v_fma_f64 v[108:109], v[42:43], v[18:19], v[128:129]
	v_fma_f64 v[42:43], v[46:47], 2.0, -v[74:75]
	v_fma_f64 v[46:47], v[50:51], 2.0, -v[78:79]
	;; [unrolled: 1-line block ×5, first 2 shown]
	ds_write_b128 v22, v[40:43]
	ds_write_b128 v10, v[76:79] offset:272
	v_add_f64 v[118:119], v[38:39], -v[108:109]
	buffer_store_dword v10, off, s[60:63], 0 offset:96 ; 4-byte Folded Spill
	ds_write_b128 v10, v[44:47]
	ds_write_b128 v11, v[48:51]
	buffer_store_dword v11, off, s[60:63], 0 offset:92 ; 4-byte Folded Spill
	ds_write_b128 v11, v[80:83] offset:272
	ds_write_b128 v9, v[52:55]
	buffer_store_dword v9, off, s[60:63], 0 offset:88 ; 4-byte Folded Spill
	ds_write_b128 v9, v[84:87] offset:272
	;; [unrolled: 3-line block ×5, first 2 shown]
	s_and_saveexec_b32 s1, s0
	s_cbranch_execz .LBB0_11
; %bb.10:
	buffer_load_dword v0, off, s[60:63], 0 offset:4 ; 4-byte Folded Reload
	v_fma_f64 v[38:39], v[38:39], 2.0, -v[118:119]
	v_fma_f64 v[36:37], v[36:37], 2.0, -v[116:117]
	s_waitcnt vmcnt(0)
	v_add_lshl_u32 v0, v241, v0, 4
	ds_write_b128 v0, v[36:39] offset:7616
	ds_write_b128 v0, v[116:119] offset:7888
.LBB0_11:
	s_or_b32 exec_lo, exec_lo, s1
	v_lshrrev_b16 v0, 13, v105
	v_lshlrev_b32_e32 v1, 5, v255
	v_lshrrev_b16 v2, 13, v104
	s_waitcnt lgkmcnt(0)
	s_waitcnt_vscnt null, 0x0
	s_barrier
	v_mul_lo_u16 v0, v0, 34
	buffer_gl0_inv
	s_clause 0x1
	global_load_dwordx4 v[36:39], v1, s[2:3] offset:272
	global_load_dwordx4 v[40:43], v1, s[2:3] offset:288
	v_mul_lo_u16 v1, v2, 34
	v_sub_nc_u16 v0, v102, v0
	s_mov_b32 s8, 0xe8584caa
	s_mov_b32 s9, 0x3febb67a
	;; [unrolled: 1-line block ×3, first 2 shown]
	v_sub_nc_u16 v1, v4, v1
	v_and_b32_e32 v44, 0xff, v0
	v_lshrrev_b16 v0, 13, v7
	s_mov_b32 s10, s8
	s_mov_b32 s17, 0xbfee6f0e
	v_and_b32_e32 v1, 0xff, v1
	v_lshlrev_b32_e32 v2, 5, v44
	v_mul_lo_u16 v0, v0, 34
	v_add_lshl_u32 v3, v241, v44, 4
	s_mov_b32 s18, 0x372fe950
	s_mov_b32 s19, 0x3fd3c6ef
	s_clause 0x1
	global_load_dwordx4 v[60:63], v2, s[2:3] offset:272
	global_load_dwordx4 v[56:59], v2, s[2:3] offset:288
	v_sub_nc_u16 v0, v5, v0
	v_lshlrev_b32_e32 v2, 5, v1
	v_add_lshl_u32 v1, v241, v1, 4
	s_clause 0x1
	global_load_dwordx4 v[72:75], v2, s[2:3] offset:272
	global_load_dwordx4 v[64:67], v2, s[2:3] offset:288
	v_and_b32_e32 v0, 0xff, v0
	v_lshlrev_b32_e32 v2, 5, v0
	v_add_lshl_u32 v0, v241, v0, 4
	s_clause 0x1
	global_load_dwordx4 v[68:71], v2, s[2:3] offset:272
	global_load_dwordx4 v[76:79], v2, s[2:3] offset:288
	ds_read_b128 v[45:48], v6 offset:2720
	ds_read_b128 v[49:52], v6 offset:5440
	;; [unrolled: 1-line block ×11, first 2 shown]
	ds_read_b128 v[124:127], v6
	ds_read_b128 v[128:131], v6 offset:544
	v_lshlrev_b32_e32 v2, 6, v255
	s_waitcnt vmcnt(7) lgkmcnt(12)
	v_mul_f64 v[4:5], v[47:48], v[38:39]
	v_mul_f64 v[53:54], v[45:46], v[38:39]
	s_waitcnt lgkmcnt(10)
	v_mul_f64 v[136:137], v[82:83], v[38:39]
	v_mul_f64 v[138:139], v[80:81], v[38:39]
	s_waitcnt vmcnt(6) lgkmcnt(9)
	v_mul_f64 v[140:141], v[86:87], v[42:43]
	v_mul_f64 v[142:143], v[84:85], v[42:43]
	;; [unrolled: 1-line block ×4, first 2 shown]
	s_waitcnt vmcnt(5) lgkmcnt(8)
	v_mul_f64 v[144:145], v[90:91], v[62:63]
	v_mul_f64 v[146:147], v[88:89], v[62:63]
	s_waitcnt vmcnt(4) lgkmcnt(7)
	v_mul_f64 v[148:149], v[94:95], v[58:59]
	v_mul_f64 v[150:151], v[92:93], v[58:59]
	v_fma_f64 v[4:5], v[45:46], v[36:37], -v[4:5]
	v_fma_f64 v[53:54], v[47:48], v[36:37], v[53:54]
	s_waitcnt vmcnt(3) lgkmcnt(5)
	v_mul_f64 v[152:153], v[106:107], v[74:75]
	v_mul_f64 v[154:155], v[104:105], v[74:75]
	s_waitcnt vmcnt(2) lgkmcnt(4)
	v_mul_f64 v[156:157], v[110:111], v[66:67]
	v_mul_f64 v[158:159], v[108:109], v[66:67]
	v_fma_f64 v[80:81], v[80:81], v[36:37], -v[136:137]
	v_fma_f64 v[82:83], v[82:83], v[36:37], v[138:139]
	v_fma_f64 v[84:85], v[84:85], v[40:41], -v[140:141]
	v_fma_f64 v[86:87], v[86:87], v[40:41], v[142:143]
	;; [unrolled: 2-line block ×3, first 2 shown]
	ds_read_b128 v[45:48], v6 offset:1088
	ds_read_b128 v[49:52], v6 offset:1632
	s_waitcnt vmcnt(1) lgkmcnt(5)
	v_mul_f64 v[136:137], v[114:115], v[70:71]
	v_mul_f64 v[138:139], v[112:113], v[70:71]
	s_waitcnt vmcnt(0) lgkmcnt(4)
	v_mul_f64 v[140:141], v[122:123], v[78:79]
	v_mul_f64 v[142:143], v[120:121], v[78:79]
	v_fma_f64 v[88:89], v[88:89], v[60:61], -v[144:145]
	v_fma_f64 v[90:91], v[90:91], v[60:61], v[146:147]
	v_fma_f64 v[92:93], v[92:93], v[56:57], -v[148:149]
	v_fma_f64 v[94:95], v[94:95], v[56:57], v[150:151]
	s_waitcnt lgkmcnt(0)
	v_add_f64 v[150:151], v[124:125], v[4:5]
	v_add_f64 v[148:149], v[126:127], v[53:54]
	v_fma_f64 v[104:105], v[104:105], v[72:73], -v[152:153]
	v_fma_f64 v[106:107], v[106:107], v[72:73], v[154:155]
	v_fma_f64 v[108:109], v[108:109], v[64:65], -v[156:157]
	v_fma_f64 v[110:111], v[110:111], v[64:65], v[158:159]
	s_barrier
	buffer_gl0_inv
	v_add_f64 v[152:153], v[80:81], v[84:85]
	v_add_f64 v[154:155], v[82:83], v[86:87]
	;; [unrolled: 1-line block ×4, first 2 shown]
	v_add_f64 v[53:54], v[53:54], -v[134:135]
	v_fma_f64 v[112:113], v[112:113], v[68:69], -v[136:137]
	v_fma_f64 v[114:115], v[114:115], v[68:69], v[138:139]
	v_add_f64 v[136:137], v[130:131], v[82:83]
	v_add_f64 v[138:139], v[128:129], v[80:81]
	v_fma_f64 v[120:121], v[120:121], v[76:77], -v[140:141]
	v_fma_f64 v[122:123], v[122:123], v[76:77], v[142:143]
	v_add_f64 v[140:141], v[88:89], v[92:93]
	v_add_f64 v[142:143], v[90:91], v[94:95]
	v_add_f64 v[4:5], v[4:5], -v[132:133]
	v_add_f64 v[156:157], v[82:83], -v[86:87]
	;; [unrolled: 1-line block ×3, first 2 shown]
	v_add_f64 v[82:83], v[148:149], v[134:135]
	v_add_f64 v[80:81], v[150:151], v[132:133]
	;; [unrolled: 1-line block ×6, first 2 shown]
	v_fma_f64 v[128:129], v[152:153], -0.5, v[128:129]
	v_fma_f64 v[130:131], v[154:155], -0.5, v[130:131]
	;; [unrolled: 1-line block ×4, first 2 shown]
	v_add_f64 v[144:145], v[47:48], v[90:91]
	v_add_f64 v[146:147], v[45:46], v[88:89]
	;; [unrolled: 1-line block ×7, first 2 shown]
	v_fma_f64 v[140:141], v[140:141], -0.5, v[45:46]
	v_fma_f64 v[142:143], v[142:143], -0.5, v[47:48]
	v_add_f64 v[154:155], v[96:97], v[112:113]
	v_add_f64 v[160:161], v[90:91], -v[94:95]
	v_add_f64 v[162:163], v[88:89], -v[92:93]
	;; [unrolled: 1-line block ×6, first 2 shown]
	v_fma_f64 v[132:133], v[132:133], -0.5, v[49:50]
	v_fma_f64 v[134:135], v[134:135], -0.5, v[51:52]
	v_add_f64 v[51:52], v[148:149], v[110:111]
	v_add_f64 v[49:50], v[150:151], v[108:109]
	v_fma_f64 v[104:105], v[156:157], s[8:9], v[128:129]
	v_fma_f64 v[108:109], v[156:157], s[10:11], v[128:129]
	v_add_f64 v[47:48], v[144:145], v[94:95]
	v_add_f64 v[45:46], v[146:147], v[92:93]
	;; [unrolled: 1-line block ×3, first 2 shown]
	v_fma_f64 v[92:93], v[53:54], s[8:9], v[124:125]
	v_fma_f64 v[94:95], v[4:5], s[10:11], v[126:127]
	v_fma_f64 v[136:137], v[136:137], -0.5, v[96:97]
	v_fma_f64 v[138:139], v[138:139], -0.5, v[98:99]
	v_fma_f64 v[96:97], v[53:54], s[10:11], v[124:125]
	v_fma_f64 v[98:99], v[4:5], s[8:9], v[126:127]
	v_add_f64 v[88:89], v[154:155], v[120:121]
	v_fma_f64 v[106:107], v[158:159], s[10:11], v[130:131]
	v_fma_f64 v[110:111], v[158:159], s[8:9], v[130:131]
	;; [unrolled: 1-line block ×10, first 2 shown]
	v_lshlrev_b64 v[4:5], 6, v[100:101]
	ds_write_b128 v6, v[80:83]
	ds_write_b128 v6, v[84:87] offset:1632
	ds_write_b128 v6, v[92:95] offset:544
	;; [unrolled: 1-line block ×7, first 2 shown]
	v_fma_f64 v[132:133], v[168:169], s[8:9], v[136:137]
	v_fma_f64 v[136:137], v[168:169], s[10:11], v[136:137]
	;; [unrolled: 1-line block ×4, first 2 shown]
	buffer_store_dword v3, off, s[60:63], 0 offset:108 ; 4-byte Folded Spill
	ds_write_b128 v3, v[120:123] offset:4352
	ds_write_b128 v1, v[49:52] offset:4896
	;; [unrolled: 1-line block ×3, first 2 shown]
	buffer_store_dword v1, off, s[60:63], 0 offset:104 ; 4-byte Folded Spill
	v_add_co_u32 v4, s1, s2, v4
	ds_write_b128 v1, v[128:131] offset:5984
	ds_write_b128 v0, v[88:91] offset:6528
	ds_write_b128 v0, v[132:135] offset:7072
	buffer_store_dword v0, off, s[60:63], 0 offset:100 ; 4-byte Folded Spill
	v_add_co_ci_u32_e64 v5, s1, s3, v5, s1
	ds_write_b128 v0, v[136:139] offset:7616
	s_waitcnt lgkmcnt(0)
	s_waitcnt_vscnt null, 0x0
	s_barrier
	buffer_gl0_inv
	s_clause 0x7
	global_load_dwordx4 v[44:47], v2, s[2:3] offset:1360
	global_load_dwordx4 v[48:51], v2, s[2:3] offset:1376
	;; [unrolled: 1-line block ×4, first 2 shown]
	global_load_dwordx4 v[80:83], v[4:5], off offset:1360
	global_load_dwordx4 v[84:87], v[4:5], off offset:1376
	;; [unrolled: 1-line block ×4, first 2 shown]
	ds_read_b128 v[104:107], v6 offset:1632
	ds_read_b128 v[108:111], v6 offset:3264
	;; [unrolled: 1-line block ×4, first 2 shown]
	v_lshlrev_b64 v[4:5], 6, v[102:103]
	ds_read_b128 v[100:103], v6 offset:2176
	ds_read_b128 v[124:127], v6 offset:3808
	;; [unrolled: 1-line block ×5, first 2 shown]
	s_mov_b32 s10, 0x134454ff
	s_mov_b32 s11, 0x3fee6f0e
	;; [unrolled: 1-line block ×3, first 2 shown]
	v_add_co_u32 v4, s1, s2, v4
	v_add_co_ci_u32_e64 v5, s1, s3, v5, s1
	s_mov_b32 s2, 0x4755a5e
	s_mov_b32 s3, 0x3fe2cf23
	s_mov_b32 s9, 0xbfe2cf23
	s_mov_b32 s8, s2
	s_waitcnt vmcnt(7) lgkmcnt(8)
	v_mul_f64 v[140:141], v[106:107], v[46:47]
	s_waitcnt vmcnt(6) lgkmcnt(7)
	v_mul_f64 v[144:145], v[110:111], v[50:51]
	v_mul_f64 v[146:147], v[108:109], v[50:51]
	;; [unrolled: 1-line block ×3, first 2 shown]
	s_waitcnt vmcnt(5) lgkmcnt(6)
	v_mul_f64 v[148:149], v[114:115], v[54:55]
	v_mul_f64 v[150:151], v[112:113], v[54:55]
	s_waitcnt vmcnt(4) lgkmcnt(5)
	v_mul_f64 v[152:153], v[120:121], v[98:99]
	v_mul_f64 v[154:155], v[122:123], v[98:99]
	v_fma_f64 v[140:141], v[104:105], v[44:45], -v[140:141]
	v_fma_f64 v[156:157], v[108:109], v[48:49], -v[144:145]
	v_fma_f64 v[158:159], v[110:111], v[48:49], v[146:147]
	s_waitcnt vmcnt(3) lgkmcnt(4)
	v_mul_f64 v[144:145], v[102:103], v[82:83]
	v_mul_f64 v[146:147], v[100:101], v[82:83]
	v_fma_f64 v[142:143], v[106:107], v[44:45], v[142:143]
	ds_read_b128 v[104:107], v6 offset:2720
	ds_read_b128 v[108:111], v6 offset:5440
	v_fma_f64 v[148:149], v[112:113], v[52:53], -v[148:149]
	v_fma_f64 v[150:151], v[114:115], v[52:53], v[150:151]
	s_waitcnt vmcnt(2) lgkmcnt(5)
	v_mul_f64 v[112:113], v[126:127], v[86:87]
	v_mul_f64 v[114:115], v[124:125], v[86:87]
	v_fma_f64 v[152:153], v[122:123], v[96:97], v[152:153]
	v_fma_f64 v[154:155], v[120:121], v[96:97], -v[154:155]
	ds_read_b128 v[120:123], v6 offset:5984
	v_fma_f64 v[160:161], v[100:101], v[80:81], -v[144:145]
	v_fma_f64 v[162:163], v[102:103], v[80:81], v[146:147]
	s_waitcnt vmcnt(1) lgkmcnt(1)
	v_mul_f64 v[100:101], v[110:111], v[90:91]
	v_mul_f64 v[102:103], v[108:109], v[90:91]
	v_add_f64 v[144:145], v[156:157], v[148:149]
	v_add_f64 v[174:175], v[158:159], -v[150:151]
	v_fma_f64 v[164:165], v[124:125], v[84:85], -v[112:113]
	v_fma_f64 v[166:167], v[126:127], v[84:85], v[114:115]
	v_add_f64 v[172:173], v[142:143], -v[152:153]
	v_add_f64 v[146:147], v[158:159], v[150:151]
	v_add_f64 v[176:177], v[140:141], -v[154:155]
	v_add_f64 v[178:179], v[156:157], -v[148:149]
	v_fma_f64 v[180:181], v[108:109], v[88:89], -v[100:101]
	v_fma_f64 v[182:183], v[110:111], v[88:89], v[102:103]
	s_clause 0x1
	global_load_dwordx4 v[112:115], v[4:5], off offset:1360
	global_load_dwordx4 v[108:111], v[4:5], off offset:1376
	s_waitcnt vmcnt(2)
	v_mul_f64 v[100:101], v[134:135], v[94:95]
	v_mul_f64 v[102:103], v[132:133], v[94:95]
	v_fma_f64 v[132:133], v[132:133], v[92:93], -v[100:101]
	v_fma_f64 v[134:135], v[134:135], v[92:93], v[102:103]
	s_waitcnt vmcnt(1)
	v_mul_f64 v[100:101], v[106:107], v[114:115]
	v_fma_f64 v[184:185], v[104:105], v[112:113], -v[100:101]
	v_mul_f64 v[100:101], v[104:105], v[114:115]
	v_fma_f64 v[186:187], v[106:107], v[112:113], v[100:101]
	s_waitcnt vmcnt(0)
	v_mul_f64 v[100:101], v[130:131], v[110:111]
	v_fma_f64 v[188:189], v[128:129], v[108:109], -v[100:101]
	v_mul_f64 v[100:101], v[128:129], v[110:111]
	v_fma_f64 v[190:191], v[130:131], v[108:109], v[100:101]
	s_clause 0x1
	global_load_dwordx4 v[104:107], v[4:5], off offset:1392
	global_load_dwordx4 v[100:103], v[4:5], off offset:1408
	s_waitcnt vmcnt(1) lgkmcnt(0)
	v_mul_f64 v[4:5], v[122:123], v[106:107]
	v_fma_f64 v[4:5], v[120:121], v[104:105], -v[4:5]
	v_mul_f64 v[120:121], v[120:121], v[106:107]
	v_fma_f64 v[192:193], v[122:123], v[104:105], v[120:121]
	ds_read_b128 v[120:123], v6 offset:7616
	s_waitcnt vmcnt(0) lgkmcnt(0)
	v_mul_f64 v[124:125], v[122:123], v[102:103]
	v_fma_f64 v[194:195], v[120:121], v[100:101], -v[124:125]
	v_mul_f64 v[120:121], v[120:121], v[102:103]
	v_fma_f64 v[196:197], v[122:123], v[100:101], v[120:121]
	v_add_f64 v[120:121], v[140:141], -v[156:157]
	v_add_f64 v[122:123], v[154:155], -v[148:149]
	v_add_f64 v[128:129], v[120:121], v[122:123]
	v_add_f64 v[120:121], v[142:143], -v[158:159]
	v_add_f64 v[122:123], v[152:153], -v[150:151]
	v_add_f64 v[130:131], v[120:121], v[122:123]
	ds_read_b128 v[120:123], v6
	ds_read_b128 v[124:127], v6 offset:544
	buffer_load_dword v0, off, s[60:63], 0  ; 4-byte Folded Reload
	s_waitcnt lgkmcnt(1)
	v_fma_f64 v[144:145], v[144:145], -0.5, v[120:121]
	v_fma_f64 v[146:147], v[146:147], -0.5, v[122:123]
	v_fma_f64 v[168:169], v[172:173], s[10:11], v[144:145]
	v_fma_f64 v[144:145], v[172:173], s[16:17], v[144:145]
	;; [unrolled: 1-line block ×10, first 2 shown]
	v_add_f64 v[128:129], v[140:141], v[154:155]
	v_fma_f64 v[170:171], v[130:131], s[18:19], v[170:171]
	v_fma_f64 v[146:147], v[130:131], s[18:19], v[146:147]
	v_fma_f64 v[198:199], v[128:129], -0.5, v[120:121]
	v_add_f64 v[128:129], v[142:143], v[152:153]
	v_add_f64 v[120:121], v[120:121], v[140:141]
	v_add_f64 v[140:141], v[156:157], -v[140:141]
	v_fma_f64 v[200:201], v[128:129], -0.5, v[122:123]
	v_add_f64 v[122:123], v[122:123], v[142:143]
	v_add_f64 v[120:121], v[120:121], v[156:157]
	v_add_f64 v[142:143], v[158:159], -v[142:143]
	v_add_f64 v[156:157], v[160:161], -v[132:133]
	v_add_f64 v[122:123], v[122:123], v[158:159]
	v_add_f64 v[120:121], v[120:121], v[148:149]
	v_add_f64 v[148:149], v[148:149], -v[154:155]
	v_add_f64 v[158:159], v[164:165], -v[180:181]
	v_add_f64 v[122:123], v[122:123], v[150:151]
	v_add_f64 v[128:129], v[120:121], v[154:155]
	v_add_f64 v[120:121], v[150:151], -v[152:153]
	v_fma_f64 v[150:151], v[174:175], s[10:11], v[198:199]
	v_fma_f64 v[154:155], v[178:179], s[16:17], v[200:201]
	v_add_f64 v[140:141], v[140:141], v[148:149]
	v_add_f64 v[130:131], v[122:123], v[152:153]
	v_fma_f64 v[122:123], v[174:175], s[16:17], v[198:199]
	v_fma_f64 v[152:153], v[178:179], s[10:11], v[200:201]
	v_add_f64 v[120:121], v[142:143], v[120:121]
	v_fma_f64 v[142:143], v[172:173], s[8:9], v[150:151]
	v_fma_f64 v[150:151], v[176:177], s[2:3], v[154:155]
	v_add_f64 v[154:155], v[166:167], -v[182:183]
	v_add_f64 v[198:199], v[164:165], -v[160:161]
	;; [unrolled: 1-line block ×3, first 2 shown]
	v_fma_f64 v[122:123], v[172:173], s[2:3], v[122:123]
	v_fma_f64 v[148:149], v[176:177], s[8:9], v[152:153]
	v_add_f64 v[152:153], v[162:163], -v[134:135]
	v_fma_f64 v[172:173], v[140:141], s[18:19], v[142:143]
	v_fma_f64 v[174:175], v[120:121], s[18:19], v[150:151]
	v_add_f64 v[142:143], v[166:167], v[182:183]
	v_fma_f64 v[176:177], v[140:141], s[18:19], v[122:123]
	v_fma_f64 v[178:179], v[120:121], s[18:19], v[148:149]
	v_add_f64 v[120:121], v[160:161], -v[164:165]
	v_add_f64 v[122:123], v[132:133], -v[180:181]
	;; [unrolled: 1-line block ×3, first 2 shown]
	s_waitcnt lgkmcnt(0)
	v_fma_f64 v[142:143], v[142:143], -0.5, v[126:127]
	v_add_f64 v[120:121], v[120:121], v[122:123]
	v_add_f64 v[122:123], v[162:163], -v[166:167]
	v_fma_f64 v[150:151], v[156:157], s[16:17], v[142:143]
	v_fma_f64 v[142:143], v[156:157], s[10:11], v[142:143]
	v_add_f64 v[122:123], v[122:123], v[140:141]
	v_add_f64 v[140:141], v[164:165], v[180:181]
	v_fma_f64 v[150:151], v[158:159], s[8:9], v[150:151]
	v_fma_f64 v[142:143], v[158:159], s[2:3], v[142:143]
	v_fma_f64 v[140:141], v[140:141], -0.5, v[124:125]
	v_fma_f64 v[150:151], v[122:123], s[18:19], v[150:151]
	v_fma_f64 v[142:143], v[122:123], s[18:19], v[142:143]
	v_add_f64 v[122:123], v[162:163], v[134:135]
	s_waitcnt vmcnt(0)
	v_lshl_add_u32 v7, v255, 4, v0
	v_fma_f64 v[148:149], v[152:153], s[10:11], v[140:141]
	v_fma_f64 v[140:141], v[152:153], s[16:17], v[140:141]
	v_fma_f64 v[122:123], v[122:123], -0.5, v[126:127]
	v_add_f64 v[126:127], v[126:127], v[162:163]
	v_fma_f64 v[148:149], v[154:155], s[2:3], v[148:149]
	v_fma_f64 v[140:141], v[154:155], s[8:9], v[140:141]
	v_add_f64 v[126:127], v[126:127], v[166:167]
	v_fma_f64 v[148:149], v[120:121], s[18:19], v[148:149]
	v_fma_f64 v[140:141], v[120:121], s[18:19], v[140:141]
	v_add_f64 v[120:121], v[160:161], v[132:133]
	v_add_f64 v[126:127], v[126:127], v[182:183]
	v_fma_f64 v[120:121], v[120:121], -0.5, v[124:125]
	v_add_f64 v[124:125], v[124:125], v[160:161]
	v_add_f64 v[124:125], v[124:125], v[164:165]
	v_add_f64 v[164:165], v[166:167], -v[162:163]
	v_add_f64 v[166:167], v[180:181], -v[132:133]
	v_add_f64 v[162:163], v[126:127], v[134:135]
	v_fma_f64 v[126:127], v[154:155], s[16:17], v[120:121]
	v_fma_f64 v[120:121], v[154:155], s[10:11], v[120:121]
	v_add_f64 v[124:125], v[124:125], v[180:181]
	v_add_f64 v[180:181], v[190:191], -v[192:193]
	v_fma_f64 v[126:127], v[152:153], s[2:3], v[126:127]
	v_fma_f64 v[120:121], v[152:153], s[8:9], v[120:121]
	v_add_f64 v[160:161], v[124:125], v[132:133]
	v_add_f64 v[124:125], v[182:183], -v[134:135]
	;; [unrolled: 4-line block ×3, first 2 shown]
	v_add_f64 v[182:183], v[186:187], -v[196:197]
	v_add_f64 v[124:125], v[164:165], v[124:125]
	v_fma_f64 v[132:133], v[156:157], s[8:9], v[132:133]
	v_fma_f64 v[122:123], v[156:157], s[2:3], v[122:123]
	;; [unrolled: 1-line block ×3, first 2 shown]
	v_add_f64 v[120:121], v[188:189], -v[184:185]
	v_fma_f64 v[156:157], v[134:135], s[18:19], v[126:127]
	v_add_f64 v[126:127], v[186:187], v[196:197]
	v_fma_f64 v[158:159], v[124:125], s[18:19], v[132:133]
	v_fma_f64 v[154:155], v[124:125], s[18:19], v[122:123]
	v_add_f64 v[122:123], v[4:5], -v[194:195]
	v_add_f64 v[124:125], v[192:193], -v[196:197]
	v_fma_f64 v[126:127], v[126:127], -0.5, v[138:139]
	v_add_f64 v[120:121], v[120:121], v[122:123]
	v_add_f64 v[122:123], v[190:191], -v[186:187]
	v_fma_f64 v[134:135], v[198:199], s[10:11], v[126:127]
	v_fma_f64 v[126:127], v[198:199], s[16:17], v[126:127]
	v_add_f64 v[122:123], v[122:123], v[124:125]
	v_add_f64 v[124:125], v[184:185], v[194:195]
	v_fma_f64 v[134:135], v[200:201], s[8:9], v[134:135]
	v_fma_f64 v[126:127], v[200:201], s[2:3], v[126:127]
	v_fma_f64 v[124:125], v[124:125], -0.5, v[136:137]
	v_fma_f64 v[134:135], v[122:123], s[18:19], v[134:135]
	v_fma_f64 v[126:127], v[122:123], s[18:19], v[126:127]
	v_add_f64 v[122:123], v[190:191], v[192:193]
	v_fma_f64 v[132:133], v[180:181], s[16:17], v[124:125]
	v_fma_f64 v[124:125], v[180:181], s[10:11], v[124:125]
	v_fma_f64 v[122:123], v[122:123], -0.5, v[138:139]
	v_add_f64 v[138:139], v[138:139], v[186:187]
	v_add_f64 v[186:187], v[186:187], -v[190:191]
	v_fma_f64 v[132:133], v[182:183], s[2:3], v[132:133]
	v_fma_f64 v[124:125], v[182:183], s[8:9], v[124:125]
	v_add_f64 v[138:139], v[138:139], v[190:191]
	v_fma_f64 v[132:133], v[120:121], s[18:19], v[132:133]
	v_fma_f64 v[124:125], v[120:121], s[18:19], v[124:125]
	v_add_f64 v[120:121], v[188:189], v[4:5]
	v_add_f64 v[138:139], v[138:139], v[192:193]
	v_fma_f64 v[120:121], v[120:121], -0.5, v[136:137]
	v_add_f64 v[136:137], v[136:137], v[184:185]
	v_add_f64 v[184:185], v[184:185], -v[188:189]
	v_add_f64 v[166:167], v[138:139], v[196:197]
	v_fma_f64 v[138:139], v[182:183], s[10:11], v[120:121]
	v_add_f64 v[136:137], v[136:137], v[188:189]
	v_fma_f64 v[120:121], v[182:183], s[16:17], v[120:121]
	v_fma_f64 v[182:183], v[200:201], s[16:17], v[122:123]
	;; [unrolled: 1-line block ×3, first 2 shown]
	v_add_f64 v[136:137], v[136:137], v[4:5]
	v_add_f64 v[4:5], v[194:195], -v[4:5]
	v_fma_f64 v[120:121], v[180:181], s[8:9], v[120:121]
	v_fma_f64 v[122:123], v[198:199], s[2:3], v[122:123]
	v_add_f64 v[164:165], v[136:137], v[194:195]
	v_add_f64 v[136:137], v[196:197], -v[192:193]
	v_add_f64 v[4:5], v[184:185], v[4:5]
	v_add_f64 v[184:185], v[186:187], v[136:137]
	v_fma_f64 v[136:137], v[180:181], s[2:3], v[138:139]
	v_fma_f64 v[138:139], v[198:199], s[8:9], v[182:183]
	;; [unrolled: 1-line block ×6, first 2 shown]
	ds_write_b128 v7, v[128:131]
	ds_write_b128 v7, v[160:163] offset:544
	ds_write_b128 v7, v[164:167] offset:1088
	;; [unrolled: 1-line block ×14, first 2 shown]
	s_waitcnt lgkmcnt(0)
	s_barrier
	buffer_gl0_inv
	s_and_saveexec_b32 s8, vcc_lo
	s_cbranch_execz .LBB0_13
; %bb.12:
	v_lshlrev_b32_e32 v0, 4, v255
	s_add_u32 s2, s12, 0x1fe0
	s_addc_u32 s3, s13, 0
	v_mov_b32_e32 v8, v244
	v_mov_b32_e32 v9, v245
	s_clause 0x4
	global_load_dwordx4 v[182:185], v0, s[2:3]
	global_load_dwordx4 v[186:189], v0, s[2:3] offset:480
	global_load_dwordx4 v[190:193], v0, s[2:3] offset:960
	;; [unrolled: 1-line block ×4, first 2 shown]
	v_add_co_u32 v4, s1, s2, v0
	v_add_co_ci_u32_e64 v5, null, s3, 0, s1
	v_mov_b32_e32 v10, v246
	v_add_co_u32 v180, s1, 0x800, v4
	v_add_co_ci_u32_e64 v181, s1, 0, v5, s1
	v_add_co_u32 v210, s1, 0x1000, v4
	s_clause 0x3
	global_load_dwordx4 v[202:205], v[180:181], off offset:352
	global_load_dwordx4 v[206:209], v[180:181], off offset:832
	;; [unrolled: 1-line block ×4, first 2 shown]
	v_add_co_ci_u32_e64 v211, s1, 0, v5, s1
	ds_read_b128 v[221:224], v7
	ds_read_b128 v[229:232], v7 offset:480
	ds_read_b128 v[233:236], v7 offset:960
	;; [unrolled: 1-line block ×3, first 2 shown]
	global_load_dwordx4 v[225:228], v[210:211], off offset:224
	v_mov_b32_e32 v11, v247
	v_add_co_u32 v4, s1, 0x1800, v4
	v_add_co_ci_u32_e64 v5, s1, 0, v5, s1
	v_or_b32_e32 v0, 0x1e00, v0
	ds_read_b128 v[243:246], v7 offset:6720
	ds_read_b128 v[247:250], v7 offset:7200
	;; [unrolled: 1-line block ×3, first 2 shown]
	s_waitcnt vmcnt(9) lgkmcnt(6)
	v_mul_f64 v[180:181], v[223:224], v[184:185]
	v_mul_f64 v[184:185], v[221:222], v[184:185]
	s_waitcnt vmcnt(8) lgkmcnt(5)
	v_mul_f64 v[241:242], v[231:232], v[188:189]
	v_mul_f64 v[188:189], v[229:230], v[188:189]
	v_fma_f64 v[180:181], v[221:222], v[182:183], -v[180:181]
	v_fma_f64 v[182:183], v[223:224], v[182:183], v[184:185]
	global_load_dwordx4 v[221:224], v[210:211], off offset:704
	v_fma_f64 v[184:185], v[229:230], v[186:187], -v[241:242]
	v_fma_f64 v[186:187], v[231:232], v[186:187], v[188:189]
	s_waitcnt vmcnt(8) lgkmcnt(4)
	v_mul_f64 v[188:189], v[235:236], v[192:193]
	v_mul_f64 v[192:193], v[233:234], v[192:193]
	s_waitcnt vmcnt(7) lgkmcnt(3)
	v_mul_f64 v[241:242], v[239:240], v[196:197]
	v_mul_f64 v[196:197], v[237:238], v[196:197]
	ds_read_b128 v[229:232], v7 offset:1920
	v_fma_f64 v[188:189], v[233:234], v[190:191], -v[188:189]
	v_fma_f64 v[190:191], v[235:236], v[190:191], v[192:193]
	global_load_dwordx4 v[233:236], v[210:211], off offset:1184
	v_fma_f64 v[192:193], v[237:238], v[194:195], -v[241:242]
	v_fma_f64 v[194:195], v[239:240], v[194:195], v[196:197]
	ds_read_b128 v[237:240], v7 offset:2400
	s_waitcnt vmcnt(7) lgkmcnt(1)
	v_mul_f64 v[196:197], v[231:232], v[200:201]
	v_mul_f64 v[200:201], v[229:230], v[200:201]
	v_fma_f64 v[196:197], v[229:230], v[198:199], -v[196:197]
	v_fma_f64 v[198:199], v[231:232], v[198:199], v[200:201]
	global_load_dwordx4 v[229:232], v[210:211], off offset:1664
	s_waitcnt vmcnt(7) lgkmcnt(0)
	v_mul_f64 v[200:201], v[239:240], v[204:205]
	v_mul_f64 v[204:205], v[237:238], v[204:205]
	v_fma_f64 v[200:201], v[237:238], v[202:203], -v[200:201]
	v_fma_f64 v[202:203], v[239:240], v[202:203], v[204:205]
	ds_read_b128 v[237:240], v7 offset:2880
	s_waitcnt vmcnt(6) lgkmcnt(0)
	v_mul_f64 v[204:205], v[239:240], v[208:209]
	v_mul_f64 v[208:209], v[237:238], v[208:209]
	v_fma_f64 v[204:205], v[237:238], v[206:207], -v[204:205]
	v_fma_f64 v[206:207], v[239:240], v[206:207], v[208:209]
	ds_read_b128 v[208:211], v7 offset:3360
	;; [unrolled: 6-line block ×7, first 2 shown]
	s_waitcnt vmcnt(0) lgkmcnt(0)
	v_mul_f64 v[221:222], v[241:242], v[231:232]
	v_mul_f64 v[231:232], v[239:240], v[231:232]
	v_fma_f64 v[227:228], v[239:240], v[229:230], -v[221:222]
	v_fma_f64 v[229:230], v[241:242], v[229:230], v[231:232]
	global_load_dwordx4 v[231:234], v[4:5], off offset:96
	ds_read_b128 v[239:242], v7 offset:6240
	s_waitcnt vmcnt(0) lgkmcnt(0)
	v_mul_f64 v[221:222], v[241:242], v[233:234]
	v_mul_f64 v[233:234], v[239:240], v[233:234]
	v_fma_f64 v[239:240], v[239:240], v[231:232], -v[221:222]
	v_fma_f64 v[241:242], v[241:242], v[231:232], v[233:234]
	global_load_dwordx4 v[231:234], v[4:5], off offset:576
	s_waitcnt vmcnt(0)
	v_mul_f64 v[221:222], v[245:246], v[233:234]
	v_mul_f64 v[233:234], v[243:244], v[233:234]
	v_fma_f64 v[243:244], v[243:244], v[231:232], -v[221:222]
	v_fma_f64 v[245:246], v[245:246], v[231:232], v[233:234]
	global_load_dwordx4 v[231:234], v[4:5], off offset:1056
	s_waitcnt vmcnt(0)
	v_mul_f64 v[4:5], v[249:250], v[233:234]
	v_mul_f64 v[221:222], v[247:248], v[233:234]
	v_fma_f64 v[247:248], v[247:248], v[231:232], -v[4:5]
	v_fma_f64 v[249:250], v[249:250], v[231:232], v[221:222]
	global_load_dwordx4 v[231:234], v0, s[2:3]
	ds_write_b128 v7, v[180:183]
	ds_write_b128 v7, v[184:187] offset:480
	ds_write_b128 v7, v[188:191] offset:960
	;; [unrolled: 1-line block ×15, first 2 shown]
	v_mov_b32_e32 v247, v11
	v_mov_b32_e32 v246, v10
	;; [unrolled: 1-line block ×4, first 2 shown]
	s_waitcnt vmcnt(0)
	v_mul_f64 v[4:5], v[253:254], v[233:234]
	v_mul_f64 v[221:222], v[251:252], v[233:234]
	v_fma_f64 v[251:252], v[251:252], v[231:232], -v[4:5]
	v_fma_f64 v[253:254], v[253:254], v[231:232], v[221:222]
	ds_write_b128 v7, v[251:254] offset:7680
.LBB0_13:
	s_or_b32 exec_lo, exec_lo, s8
	s_waitcnt lgkmcnt(0)
	s_barrier
	buffer_gl0_inv
	s_and_saveexec_b32 s1, vcc_lo
	s_cbranch_execz .LBB0_15
; %bb.14:
	ds_read_b128 v[128:131], v7
	ds_read_b128 v[168:171], v7 offset:480
	ds_read_b128 v[176:179], v7 offset:960
	;; [unrolled: 1-line block ×16, first 2 shown]
.LBB0_15:
	s_or_b32 exec_lo, exec_lo, s1
	s_waitcnt lgkmcnt(0)
	v_add_f64 v[202:203], v[170:171], -v[246:247]
	s_mov_b32 s22, 0x2a9d6da3
	s_mov_b32 s23, 0xbfe58eea
	v_add_f64 v[225:226], v[170:171], v[246:247]
	s_mov_b32 s2, 0x75d4884
	s_mov_b32 s3, 0x3fe7a5f6
	v_add_f64 v[253:254], v[168:169], v[244:245]
	v_add_f64 v[235:236], v[150:151], -v[138:139]
	s_mov_b32 s36, 0x923c349f
	s_mov_b32 s37, 0x3feec746
	v_add_f64 v[188:189], v[178:179], -v[118:119]
	v_add_f64 v[237:238], v[168:169], -v[244:245]
	v_add_f64 v[192:193], v[178:179], v[118:119]
	s_mov_b32 s10, 0xeb564b22
	s_mov_b32 s11, 0xbfefdd0d
	v_add_f64 v[190:191], v[176:177], v[116:117]
	v_add_f64 v[194:195], v[174:175], -v[122:123]
	v_add_f64 v[200:201], v[176:177], -v[116:117]
	v_add_f64 v[198:199], v[174:175], v[122:123]
	s_mov_b32 s8, 0x6c9a05f6
	s_mov_b32 s16, 0x6ed5f1bb
	s_mov_b32 s9, 0xbfe9895b
	v_mul_f64 v[0:1], v[202:203], s[22:23]
	s_mov_b32 s17, 0xbfe348c8
	v_add_f64 v[196:197], v[172:173], v[120:121]
	v_mul_f64 v[2:3], v[225:226], s[2:3]
	v_add_f64 v[208:209], v[146:147], -v[126:127]
	v_add_f64 v[217:218], v[172:173], -v[120:121]
	v_add_f64 v[213:214], v[146:147], v[126:127]
	s_mov_b32 s34, 0xacd6c6b4
	s_mov_b32 s18, 0x7faef3
	;; [unrolled: 1-line block ×3, first 2 shown]
	v_mul_f64 v[8:9], v[188:189], s[10:11]
	s_mov_b32 s21, 0xbfc7851a
	v_mul_f64 v[12:13], v[192:193], s[24:25]
	s_mov_b32 s20, s34
	s_mov_b32 s19, 0xbfef7484
	v_add_f64 v[210:211], v[144:145], v[124:125]
	v_mul_f64 v[10:11], v[194:195], s[8:9]
	v_add_f64 v[215:216], v[144:145], -v[124:125]
	v_mul_f64 v[22:23], v[198:199], s[16:17]
	v_add_f64 v[221:222], v[162:163], -v[134:135]
	v_add_f64 v[223:224], v[160:161], v[132:133]
	v_add_f64 v[229:230], v[162:163], v[134:135]
	buffer_store_dword v0, off, s[60:63], 0 offset:308 ; 4-byte Folded Spill
	buffer_store_dword v1, off, s[60:63], 0 offset:312 ; 4-byte Folded Spill
	;; [unrolled: 1-line block ×4, first 2 shown]
	v_mul_f64 v[18:19], v[208:209], s[20:21]
	s_mov_b32 s26, 0x910ea3b9
	v_mul_f64 v[20:21], v[213:214], s[18:19]
	s_mov_b32 s27, 0xbfeb34fa
	v_add_f64 v[231:232], v[160:161], -v[132:133]
	v_add_f64 v[233:234], v[148:149], v[136:137]
	v_fma_f64 v[182:183], v[190:191], s[24:25], -v[8:9]
	v_add_f64 v[239:240], v[150:151], v[138:139]
	v_fma_f64 v[184:185], v[200:201], s[10:11], v[12:13]
	s_mov_b32 s30, 0xc61f0d01
	s_mov_b32 s31, 0xbfd183b1
	v_add_f64 v[241:242], v[148:149], -v[136:137]
	v_fma_f64 v[186:187], v[196:197], s[16:17], -v[10:11]
	v_add_f64 v[204:205], v[158:159], -v[166:167]
	s_mov_b32 s46, 0x7c9e640b
	v_mul_f64 v[24:25], v[221:222], s[38:39]
	s_mov_b32 s47, 0xbfeca52d
	v_mul_f64 v[26:27], v[229:230], s[26:27]
	s_mov_b32 s41, 0x3feca52d
	s_mov_b32 s40, s46
	v_mov_b32_e32 v14, v244
	v_mov_b32_e32 v15, v245
	;; [unrolled: 1-line block ×4, first 2 shown]
	v_add_f64 v[243:244], v[156:157], v[164:165]
	v_add_f64 v[251:252], v[158:159], v[166:167]
	s_mov_b32 s28, 0x2b2883cd
	s_mov_b32 s29, 0x3fdc86fa
	v_add_f64 v[219:220], v[156:157], -v[164:165]
	v_add_f64 v[206:207], v[154:155], -v[142:143]
	s_mov_b32 s44, 0x5d8e7cdc
	s_mov_b32 s45, 0xbfd71e95
	;; [unrolled: 1-line block ×4, first 2 shown]
	v_add_f64 v[245:246], v[152:153], v[140:141]
	v_add_f64 v[249:250], v[154:155], v[142:143]
	s_mov_b32 s42, 0x370991
	s_mov_b32 s43, 0x3fedd6d0
	v_add_f64 v[227:228], v[152:153], -v[140:141]
	v_mul_f64 v[247:248], v[202:203], s[46:47]
	s_mov_b32 s49, 0x3fe58eea
	s_mov_b32 s48, s22
	;; [unrolled: 1-line block ×4, first 2 shown]
	v_fma_f64 v[4:5], v[253:254], s[2:3], -v[0:1]
	v_mul_f64 v[0:1], v[235:236], s[36:37]
	buffer_store_dword v0, off, s[60:63], 0 offset:148 ; 4-byte Folded Spill
	buffer_store_dword v1, off, s[60:63], 0 offset:152 ; 4-byte Folded Spill
	v_fma_f64 v[180:181], v[237:238], s[22:23], v[2:3]
	v_add_f64 v[4:5], v[128:129], v[4:5]
	v_mul_f64 v[2:3], v[194:195], s[34:35]
	v_add_f64 v[180:181], v[130:131], v[180:181]
	v_add_f64 v[4:5], v[182:183], v[4:5]
	v_fma_f64 v[182:183], v[217:218], s[8:9], v[22:23]
	v_add_f64 v[180:181], v[184:185], v[180:181]
	v_add_f64 v[4:5], v[186:187], v[4:5]
	v_fma_f64 v[184:185], v[210:211], s[18:19], -v[18:19]
	v_add_f64 v[180:181], v[182:183], v[180:181]
	v_fma_f64 v[182:183], v[215:216], s[20:21], v[20:21]
	v_add_f64 v[4:5], v[184:185], v[4:5]
	v_add_f64 v[180:181], v[182:183], v[180:181]
	v_fma_f64 v[182:183], v[223:224], s[26:27], -v[24:25]
	v_add_f64 v[4:5], v[182:183], v[4:5]
	v_fma_f64 v[182:183], v[231:232], s[38:39], v[26:27]
	v_add_f64 v[180:181], v[182:183], v[180:181]
	v_fma_f64 v[182:183], v[233:234], s[30:31], -v[0:1]
	v_mul_f64 v[0:1], v[239:240], s[30:31]
	buffer_store_dword v0, off, s[60:63], 0 offset:156 ; 4-byte Folded Spill
	buffer_store_dword v1, off, s[60:63], 0 offset:160 ; 4-byte Folded Spill
	v_add_f64 v[4:5], v[182:183], v[4:5]
	v_fma_f64 v[182:183], v[241:242], s[36:37], v[0:1]
	v_mul_f64 v[0:1], v[204:205], s[40:41]
	buffer_store_dword v0, off, s[60:63], 0 offset:172 ; 4-byte Folded Spill
	buffer_store_dword v1, off, s[60:63], 0 offset:176 ; 4-byte Folded Spill
	v_add_f64 v[180:181], v[182:183], v[180:181]
	v_fma_f64 v[182:183], v[243:244], s[28:29], -v[0:1]
	v_mul_f64 v[0:1], v[251:252], s[28:29]
	buffer_store_dword v0, off, s[60:63], 0 offset:180 ; 4-byte Folded Spill
	buffer_store_dword v1, off, s[60:63], 0 offset:184 ; 4-byte Folded Spill
	v_add_f64 v[4:5], v[182:183], v[4:5]
	v_fma_f64 v[182:183], v[219:220], s[40:41], v[0:1]
	v_mul_f64 v[0:1], v[206:207], s[50:51]
	buffer_store_dword v0, off, s[60:63], 0 offset:164 ; 4-byte Folded Spill
	buffer_store_dword v1, off, s[60:63], 0 offset:168 ; 4-byte Folded Spill
	;; [unrolled: 10-line block ×3, first 2 shown]
	v_add_f64 v[182:183], v[4:5], v[182:183]
	v_fma_f64 v[4:5], v[253:254], s[28:29], -v[247:248]
	v_add_f64 v[4:5], v[128:129], v[4:5]
	v_fma_f64 v[184:185], v[190:191], s[16:17], -v[0:1]
	v_mul_f64 v[0:1], v[192:193], s[16:17]
	buffer_store_dword v0, off, s[60:63], 0 offset:300 ; 4-byte Folded Spill
	buffer_store_dword v1, off, s[60:63], 0 offset:304 ; 4-byte Folded Spill
	;; [unrolled: 1-line block ×4, first 2 shown]
	v_add_f64 v[184:185], v[184:185], v[4:5]
	v_mul_f64 v[4:5], v[225:226], s[28:29]
	v_fma_f64 v[186:187], v[237:238], s[46:47], v[4:5]
	v_add_f64 v[186:187], v[130:131], v[186:187]
	v_fma_f64 v[0:1], v[200:201], s[8:9], v[0:1]
	v_fma_f64 v[2:3], v[196:197], s[18:19], -v[2:3]
	v_add_f64 v[0:1], v[0:1], v[186:187]
	v_add_f64 v[2:3], v[2:3], v[184:185]
	v_mul_f64 v[184:185], v[198:199], s[18:19]
	buffer_store_dword v184, off, s[60:63], 0 offset:292 ; 4-byte Folded Spill
	buffer_store_dword v185, off, s[60:63], 0 offset:296 ; 4-byte Folded Spill
	v_fma_f64 v[184:185], v[217:218], s[34:35], v[184:185]
	v_add_f64 v[0:1], v[184:185], v[0:1]
	v_mul_f64 v[184:185], v[208:209], s[36:37]
	buffer_store_dword v184, off, s[60:63], 0 offset:276 ; 4-byte Folded Spill
	buffer_store_dword v185, off, s[60:63], 0 offset:280 ; 4-byte Folded Spill
	v_fma_f64 v[184:185], v[210:211], s[30:31], -v[184:185]
	v_add_f64 v[2:3], v[184:185], v[2:3]
	v_mul_f64 v[184:185], v[213:214], s[30:31]
	buffer_store_dword v184, off, s[60:63], 0 offset:284 ; 4-byte Folded Spill
	buffer_store_dword v185, off, s[60:63], 0 offset:288 ; 4-byte Folded Spill
	v_fma_f64 v[184:185], v[215:216], s[36:37], v[184:185]
	v_add_f64 v[0:1], v[184:185], v[0:1]
	v_mul_f64 v[184:185], v[221:222], s[48:49]
	buffer_store_dword v184, off, s[60:63], 0 offset:244 ; 4-byte Folded Spill
	buffer_store_dword v185, off, s[60:63], 0 offset:248 ; 4-byte Folded Spill
	v_fma_f64 v[184:185], v[223:224], s[2:3], -v[184:185]
	;; [unrolled: 10-line block ×5, first 2 shown]
	v_add_f64 v[184:185], v[184:185], v[2:3]
	v_mul_f64 v[2:3], v[249:250], s[26:27]
	buffer_store_dword v2, off, s[60:63], 0 offset:204 ; 4-byte Folded Spill
	buffer_store_dword v3, off, s[60:63], 0 offset:208 ; 4-byte Folded Spill
	s_waitcnt_vscnt null, 0x0
	s_barrier
	buffer_gl0_inv
	v_fma_f64 v[2:3], v[227:228], s[52:53], v[2:3]
	v_add_f64 v[186:187], v[2:3], v[0:1]
	s_and_saveexec_b32 s1, vcc_lo
	s_cbranch_execz .LBB0_17
; %bb.16:
	v_add_f64 v[2:3], v[128:129], v[168:169]
	v_add_f64 v[0:1], v[130:131], v[170:171]
	s_mov_b32 s55, 0xbfeec746
	s_mov_b32 s54, s36
	;; [unrolled: 1-line block ×6, first 2 shown]
	v_add_f64 v[2:3], v[2:3], v[176:177]
	v_add_f64 v[0:1], v[0:1], v[178:179]
	v_mul_f64 v[176:177], v[202:203], s[10:11]
	v_mul_f64 v[178:179], v[202:203], s[44:45]
	v_add_f64 v[2:3], v[2:3], v[172:173]
	v_add_f64 v[0:1], v[0:1], v[174:175]
	v_mul_f64 v[172:173], v[202:203], s[52:53]
	v_mul_f64 v[174:175], v[202:203], s[8:9]
	v_add_f64 v[2:3], v[2:3], v[144:145]
	s_clause 0x1
	buffer_load_dword v144, off, s[60:63], 0 offset:316
	buffer_load_dword v145, off, s[60:63], 0 offset:320
	v_add_f64 v[0:1], v[0:1], v[146:147]
	s_clause 0x1
	buffer_load_dword v146, off, s[60:63], 0 offset:308
	buffer_load_dword v147, off, s[60:63], 0 offset:312
	buffer_store_dword v8, off, s[60:63], 0 offset:348 ; 4-byte Folded Spill
	buffer_store_dword v9, off, s[60:63], 0 offset:352 ; 4-byte Folded Spill
	;; [unrolled: 1-line block ×10, first 2 shown]
	v_mov_b32_e32 v27, v17
	v_fma_f64 v[8:9], v[253:254], s[24:25], -v[176:177]
	v_fma_f64 v[10:11], v[253:254], s[24:25], v[176:177]
	v_fma_f64 v[176:177], v[253:254], s[42:43], -v[178:179]
	v_fma_f64 v[178:179], v[253:254], s[42:43], v[178:179]
	v_mov_b32_e32 v26, v16
	v_mov_b32_e32 v25, v15
	;; [unrolled: 1-line block ×3, first 2 shown]
	v_mul_f64 v[16:17], v[204:205], s[54:55]
	v_add_f64 v[2:3], v[2:3], v[160:161]
	v_add_f64 v[0:1], v[0:1], v[162:163]
	;; [unrolled: 1-line block ×4, first 2 shown]
	v_mul_f64 v[148:149], v[237:238], s[52:53]
	v_add_f64 v[0:1], v[0:1], v[150:151]
	v_mul_f64 v[150:151], v[237:238], s[8:9]
	v_add_f64 v[2:3], v[2:3], v[156:157]
	v_mul_f64 v[156:157], v[237:238], s[54:55]
	v_add_f64 v[0:1], v[0:1], v[158:159]
	v_fma_f64 v[160:161], v[225:226], s[26:27], v[148:149]
	v_fma_f64 v[148:149], v[225:226], s[26:27], -v[148:149]
	v_fma_f64 v[162:163], v[225:226], s[16:17], v[150:151]
	v_fma_f64 v[150:151], v[225:226], s[16:17], -v[150:151]
	v_add_f64 v[2:3], v[2:3], v[152:153]
	v_mul_f64 v[152:153], v[237:238], s[10:11]
	v_add_f64 v[0:1], v[0:1], v[154:155]
	v_mul_f64 v[154:155], v[237:238], s[44:45]
	v_fma_f64 v[170:171], v[225:226], s[30:31], v[156:157]
	v_fma_f64 v[156:157], v[225:226], s[30:31], -v[156:157]
	v_add_f64 v[160:161], v[130:131], v[160:161]
	v_add_f64 v[162:163], v[130:131], v[162:163]
	;; [unrolled: 1-line block ×3, first 2 shown]
	v_mul_f64 v[140:141], v[237:238], s[46:47]
	v_add_f64 v[0:1], v[0:1], v[142:143]
	v_mul_f64 v[142:143], v[237:238], s[22:23]
	v_fma_f64 v[168:169], v[225:226], s[42:43], -v[154:155]
	v_add_f64 v[156:157], v[130:131], v[156:157]
	v_add_f64 v[2:3], v[2:3], v[164:165]
	v_add_f64 v[4:5], v[4:5], -v[140:141]
	v_add_f64 v[0:1], v[0:1], v[166:167]
	v_mul_f64 v[140:141], v[253:254], s[28:29]
	v_fma_f64 v[166:167], v[225:226], s[42:43], v[154:155]
	v_mul_f64 v[154:155], v[202:203], s[20:21]
	v_fma_f64 v[164:165], v[225:226], s[24:25], v[152:153]
	v_fma_f64 v[152:153], v[225:226], s[24:25], -v[152:153]
	v_mul_f64 v[202:203], v[202:203], s[54:55]
	v_add_f64 v[2:3], v[2:3], v[136:137]
	v_mul_f64 v[136:137], v[200:201], s[50:51]
	v_add_f64 v[0:1], v[0:1], v[138:139]
	v_add_f64 v[140:141], v[140:141], v[247:248]
	v_fma_f64 v[247:248], v[253:254], s[16:17], -v[174:175]
	v_fma_f64 v[174:175], v[253:254], s[16:17], v[174:175]
	v_mul_f64 v[138:139], v[188:189], s[50:51]
	v_add_f64 v[164:165], v[130:131], v[164:165]
	v_fma_f64 v[12:13], v[253:254], s[30:31], -v[202:203]
	v_fma_f64 v[14:15], v[253:254], s[30:31], v[202:203]
	v_add_f64 v[2:3], v[2:3], v[132:133]
	v_add_f64 v[0:1], v[0:1], v[134:135]
	;; [unrolled: 1-line block ×12, first 2 shown]
	v_mul_f64 v[118:119], v[188:189], s[38:39]
	s_waitcnt vmcnt(2)
	v_add_f64 v[142:143], v[144:145], -v[142:143]
	v_mul_f64 v[144:145], v[253:254], s[2:3]
	s_waitcnt vmcnt(0)
	v_add_f64 v[144:145], v[144:145], v[146:147]
	v_mul_f64 v[146:147], v[237:238], s[20:21]
	v_fma_f64 v[237:238], v[253:254], s[26:27], -v[172:173]
	v_fma_f64 v[172:173], v[253:254], s[26:27], v[172:173]
	v_fma_f64 v[158:159], v[225:226], s[18:19], v[146:147]
	v_fma_f64 v[146:147], v[225:226], s[18:19], -v[146:147]
	v_fma_f64 v[225:226], v[253:254], s[18:19], -v[154:155]
	v_fma_f64 v[154:155], v[253:254], s[18:19], v[154:155]
	v_add_f64 v[237:238], v[128:129], v[237:238]
	v_add_f64 v[172:173], v[128:129], v[172:173]
	;; [unrolled: 1-line block ×12, first 2 shown]
	buffer_store_dword v4, off, s[60:63], 0 offset:380 ; 4-byte Folded Spill
	buffer_store_dword v5, off, s[60:63], 0 offset:384 ; 4-byte Folded Spill
	v_add_f64 v[4:5], v[130:131], v[142:143]
	buffer_store_dword v4, off, s[60:63], 0 offset:396 ; 4-byte Folded Spill
	buffer_store_dword v5, off, s[60:63], 0 offset:400 ; 4-byte Folded Spill
	v_add_f64 v[4:5], v[128:129], v[144:145]
	;; [unrolled: 3-line block ×5, first 2 shown]
	v_add_f64 v[168:169], v[130:131], v[170:171]
	v_fma_f64 v[130:131], v[190:191], s[42:43], -v[138:139]
	buffer_store_dword v4, off, s[60:63], 0 offset:356 ; 4-byte Folded Spill
	buffer_store_dword v5, off, s[60:63], 0 offset:360 ; 4-byte Folded Spill
	v_add_f64 v[4:5], v[128:129], v[178:179]
	v_fma_f64 v[128:129], v[192:193], s[42:43], v[136:137]
	v_add_f64 v[130:131], v[130:131], v[202:203]
	buffer_store_dword v4, off, s[60:63], 0 offset:364 ; 4-byte Folded Spill
	buffer_store_dword v5, off, s[60:63], 0 offset:368 ; 4-byte Folded Spill
	v_add_f64 v[128:129], v[128:129], v[158:159]
	v_mul_f64 v[158:159], v[217:218], s[52:53]
	buffer_store_dword v18, off, s[60:63], 0 offset:404 ; 4-byte Folded Spill
	buffer_store_dword v19, off, s[60:63], 0 offset:408 ; 4-byte Folded Spill
	;; [unrolled: 1-line block ×4, first 2 shown]
	v_mul_f64 v[20:21], v[227:228], s[58:59]
	v_mov_b32_e32 v4, v22
	v_fma_f64 v[18:19], v[243:244], s[30:31], -v[16:17]
	v_mov_b32_e32 v5, v23
	v_fma_f64 v[16:17], v[243:244], s[30:31], v[16:17]
	v_fma_f64 v[170:171], v[198:199], s[26:27], v[158:159]
	v_fma_f64 v[132:133], v[198:199], s[26:27], -v[158:159]
	v_mul_f64 v[158:159], v[241:242], s[20:21]
	v_fma_f64 v[22:23], v[249:250], s[24:25], v[20:21]
	v_fma_f64 v[20:21], v[249:250], s[24:25], -v[20:21]
	v_add_f64 v[128:129], v[170:171], v[128:129]
	v_mul_f64 v[170:171], v[194:195], s[52:53]
	v_fma_f64 v[178:179], v[196:197], s[26:27], -v[170:171]
	v_add_f64 v[130:131], v[178:179], v[130:131]
	v_mul_f64 v[178:179], v[215:216], s[48:49]
	v_fma_f64 v[202:203], v[213:214], s[2:3], v[178:179]
	v_add_f64 v[128:129], v[202:203], v[128:129]
	v_mul_f64 v[202:203], v[208:209], s[48:49]
	v_fma_f64 v[176:177], v[210:211], s[2:3], -v[202:203]
	v_add_f64 v[130:131], v[176:177], v[130:131]
	v_mul_f64 v[176:177], v[231:232], s[8:9]
	v_fma_f64 v[166:167], v[229:230], s[16:17], v[176:177]
	;; [unrolled: 6-line block ×3, first 2 shown]
	v_add_f64 v[128:129], v[142:143], v[128:129]
	v_mul_f64 v[142:143], v[235:236], s[40:41]
	v_fma_f64 v[144:145], v[233:234], s[28:29], -v[142:143]
	v_add_f64 v[130:131], v[144:145], v[130:131]
	v_mul_f64 v[144:145], v[219:220], s[54:55]
	v_add_f64 v[18:19], v[18:19], v[130:131]
	v_fma_f64 v[10:11], v[251:252], s[30:31], v[144:145]
	v_add_f64 v[10:11], v[10:11], v[128:129]
	v_add_f64 v[130:131], v[22:23], v[10:11]
	v_mul_f64 v[10:11], v[206:207], s[58:59]
	v_fma_f64 v[22:23], v[245:246], s[24:25], -v[10:11]
	v_fma_f64 v[10:11], v[245:246], s[24:25], v[10:11]
	v_add_f64 v[128:129], v[22:23], v[18:19]
	v_fma_f64 v[18:19], v[192:193], s[42:43], -v[136:137]
	v_fma_f64 v[22:23], v[190:191], s[42:43], v[138:139]
	v_mul_f64 v[136:137], v[194:195], s[10:11]
	v_mul_f64 v[138:139], v[215:216], s[56:57]
	v_add_f64 v[18:19], v[18:19], v[225:226]
	v_add_f64 v[22:23], v[22:23], v[253:254]
	;; [unrolled: 1-line block ×3, first 2 shown]
	v_fma_f64 v[132:133], v[196:197], s[26:27], v[170:171]
	v_mul_f64 v[170:171], v[204:205], s[48:49]
	v_add_f64 v[22:23], v[132:133], v[22:23]
	v_fma_f64 v[132:133], v[213:214], s[2:3], -v[178:179]
	v_add_f64 v[18:19], v[132:133], v[18:19]
	v_fma_f64 v[132:133], v[210:211], s[2:3], v[202:203]
	v_mul_f64 v[202:203], v[227:228], s[20:21]
	v_add_f64 v[22:23], v[132:133], v[22:23]
	v_fma_f64 v[132:133], v[229:230], s[16:17], -v[176:177]
	v_mul_f64 v[176:177], v[227:228], s[54:55]
	v_add_f64 v[18:19], v[132:133], v[18:19]
	v_fma_f64 v[132:133], v[223:224], s[16:17], v[166:167]
	v_mul_f64 v[166:167], v[219:220], s[48:49]
	v_add_f64 v[22:23], v[132:133], v[22:23]
	v_fma_f64 v[132:133], v[239:240], s[28:29], -v[140:141]
	v_mul_f64 v[140:141], v[208:209], s[56:57]
	;; [unrolled: 6-line block ×3, first 2 shown]
	v_add_f64 v[16:17], v[16:17], v[22:23]
	v_add_f64 v[18:19], v[132:133], v[18:19]
	v_mul_f64 v[22:23], v[217:218], s[10:11]
	v_add_f64 v[132:133], v[10:11], v[16:17]
	v_mul_f64 v[10:11], v[200:201], s[40:41]
	v_add_f64 v[134:135], v[20:21], v[18:19]
	v_mul_f64 v[18:19], v[188:189], s[40:41]
	v_fma_f64 v[124:125], v[198:199], s[24:25], v[22:23]
	v_fma_f64 v[16:17], v[192:193], s[28:29], v[10:11]
	v_fma_f64 v[10:11], v[192:193], s[28:29], -v[10:11]
	v_fma_f64 v[20:21], v[190:191], s[28:29], -v[18:19]
	v_fma_f64 v[18:19], v[190:191], s[28:29], v[18:19]
	v_add_f64 v[16:17], v[16:17], v[160:161]
	v_mul_f64 v[160:161], v[235:236], s[20:21]
	v_add_f64 v[20:21], v[20:21], v[237:238]
	v_add_f64 v[10:11], v[10:11], v[154:155]
	;; [unrolled: 1-line block ×4, first 2 shown]
	v_fma_f64 v[124:125], v[196:197], s[24:25], -v[136:137]
	v_add_f64 v[20:21], v[124:125], v[20:21]
	v_fma_f64 v[124:125], v[213:214], s[16:17], v[138:139]
	v_add_f64 v[16:17], v[124:125], v[16:17]
	v_fma_f64 v[124:125], v[210:211], s[16:17], -v[140:141]
	v_add_f64 v[20:21], v[124:125], v[20:21]
	v_fma_f64 v[124:125], v[229:230], s[42:43], v[142:143]
	v_add_f64 v[16:17], v[124:125], v[16:17]
	v_fma_f64 v[124:125], v[223:224], s[42:43], -v[144:145]
	v_add_f64 v[20:21], v[124:125], v[20:21]
	v_fma_f64 v[124:125], v[239:240], s[18:19], v[158:159]
	v_add_f64 v[16:17], v[124:125], v[16:17]
	v_fma_f64 v[124:125], v[233:234], s[18:19], -v[160:161]
	v_add_f64 v[20:21], v[124:125], v[20:21]
	v_fma_f64 v[124:125], v[251:252], s[2:3], v[166:167]
	v_add_f64 v[16:17], v[124:125], v[16:17]
	v_fma_f64 v[124:125], v[243:244], s[2:3], -v[170:171]
	v_add_f64 v[20:21], v[124:125], v[20:21]
	v_fma_f64 v[124:125], v[249:250], s[30:31], v[176:177]
	v_add_f64 v[126:127], v[124:125], v[16:17]
	v_mul_f64 v[16:17], v[206:207], s[54:55]
	v_fma_f64 v[124:125], v[245:246], s[30:31], -v[16:17]
	v_fma_f64 v[16:17], v[245:246], s[30:31], v[16:17]
	v_add_f64 v[124:125], v[124:125], v[20:21]
	v_fma_f64 v[20:21], v[198:199], s[24:25], -v[22:23]
	v_mul_f64 v[22:23], v[200:201], s[38:39]
	v_add_f64 v[10:11], v[20:21], v[10:11]
	v_fma_f64 v[20:21], v[196:197], s[24:25], v[136:137]
	v_fma_f64 v[136:137], v[190:191], s[26:27], -v[118:119]
	v_fma_f64 v[116:117], v[192:193], s[26:27], v[22:23]
	v_fma_f64 v[22:23], v[192:193], s[26:27], -v[22:23]
	v_fma_f64 v[118:119], v[190:191], s[26:27], v[118:119]
	v_add_f64 v[18:19], v[20:21], v[18:19]
	v_fma_f64 v[20:21], v[213:214], s[16:17], -v[138:139]
	v_add_f64 v[12:13], v[136:137], v[12:13]
	v_mul_f64 v[136:137], v[217:218], s[44:45]
	v_add_f64 v[116:117], v[116:117], v[168:169]
	v_add_f64 v[22:23], v[22:23], v[156:157]
	;; [unrolled: 1-line block ×3, first 2 shown]
	v_mul_f64 v[118:119], v[200:201], s[20:21]
	v_add_f64 v[10:11], v[20:21], v[10:11]
	v_fma_f64 v[20:21], v[210:211], s[16:17], v[140:141]
	v_fma_f64 v[138:139], v[198:199], s[42:43], v[136:137]
	v_fma_f64 v[136:137], v[198:199], s[42:43], -v[136:137]
	v_add_f64 v[18:19], v[20:21], v[18:19]
	v_fma_f64 v[20:21], v[229:230], s[42:43], -v[142:143]
	v_add_f64 v[10:11], v[20:21], v[10:11]
	v_fma_f64 v[20:21], v[223:224], s[42:43], v[144:145]
	v_add_f64 v[18:19], v[20:21], v[18:19]
	v_fma_f64 v[20:21], v[239:240], s[18:19], -v[158:159]
	v_add_f64 v[10:11], v[20:21], v[10:11]
	v_fma_f64 v[20:21], v[233:234], s[18:19], v[160:161]
	;; [unrolled: 4-line block ×3, first 2 shown]
	v_mul_f64 v[170:171], v[188:189], s[22:23]
	v_add_f64 v[18:19], v[20:21], v[18:19]
	v_fma_f64 v[20:21], v[249:250], s[30:31], -v[176:177]
	v_fma_f64 v[172:173], v[190:191], s[2:3], v[170:171]
	v_fma_f64 v[170:171], v[190:191], s[2:3], -v[170:171]
	v_add_f64 v[120:121], v[16:17], v[18:19]
	v_add_f64 v[122:123], v[20:21], v[10:11]
	v_mul_f64 v[10:11], v[200:201], s[36:37]
	v_mul_f64 v[18:19], v[188:189], s[36:37]
	v_fma_f64 v[16:17], v[192:193], s[30:31], v[10:11]
	v_fma_f64 v[10:11], v[192:193], s[30:31], -v[10:11]
	v_fma_f64 v[20:21], v[190:191], s[30:31], -v[18:19]
	v_fma_f64 v[18:19], v[190:191], s[30:31], v[18:19]
	v_add_f64 v[16:17], v[16:17], v[162:163]
	v_add_f64 v[10:11], v[10:11], v[146:147]
	;; [unrolled: 1-line block ×5, first 2 shown]
	v_mul_f64 v[138:139], v[194:195], s[44:45]
	v_add_f64 v[10:11], v[136:137], v[10:11]
	v_fma_f64 v[136:137], v[196:197], s[42:43], v[138:139]
	v_fma_f64 v[140:141], v[196:197], s[42:43], -v[138:139]
	v_add_f64 v[18:19], v[136:137], v[18:19]
	v_mul_f64 v[136:137], v[217:218], s[48:49]
	v_add_f64 v[20:21], v[140:141], v[20:21]
	v_fma_f64 v[138:139], v[198:199], s[2:3], v[136:137]
	v_fma_f64 v[136:137], v[198:199], s[2:3], -v[136:137]
	v_add_f64 v[116:117], v[138:139], v[116:117]
	v_mul_f64 v[138:139], v[215:216], s[52:53]
	v_add_f64 v[22:23], v[136:137], v[22:23]
	v_fma_f64 v[136:137], v[192:193], s[18:19], v[118:119]
	v_fma_f64 v[118:119], v[192:193], s[18:19], -v[118:119]
	v_fma_f64 v[140:141], v[213:214], s[26:27], v[138:139]
	v_fma_f64 v[138:139], v[213:214], s[26:27], -v[138:139]
	v_add_f64 v[136:137], v[136:137], v[164:165]
	v_add_f64 v[118:119], v[118:119], v[148:149]
	v_add_f64 v[16:17], v[140:141], v[16:17]
	v_mul_f64 v[140:141], v[208:209], s[52:53]
	v_add_f64 v[10:11], v[138:139], v[10:11]
	v_fma_f64 v[138:139], v[210:211], s[26:27], v[140:141]
	v_fma_f64 v[142:143], v[210:211], s[26:27], -v[140:141]
	v_add_f64 v[18:19], v[138:139], v[18:19]
	v_mul_f64 v[138:139], v[231:232], s[58:59]
	v_add_f64 v[20:21], v[142:143], v[20:21]
	v_fma_f64 v[140:141], v[229:230], s[24:25], v[138:139]
	v_fma_f64 v[138:139], v[229:230], s[24:25], -v[138:139]
	v_add_f64 v[16:17], v[140:141], v[16:17]
	v_mul_f64 v[140:141], v[221:222], s[58:59]
	v_add_f64 v[10:11], v[138:139], v[10:11]
	v_mul_f64 v[138:139], v[241:242], s[22:23]
	v_fma_f64 v[142:143], v[223:224], s[24:25], -v[140:141]
	v_fma_f64 v[140:141], v[223:224], s[24:25], v[140:141]
	v_add_f64 v[20:21], v[142:143], v[20:21]
	v_fma_f64 v[142:143], v[239:240], s[2:3], v[138:139]
	v_fma_f64 v[138:139], v[239:240], s[2:3], -v[138:139]
	v_add_f64 v[18:19], v[140:141], v[18:19]
	v_mul_f64 v[140:141], v[215:216], s[46:47]
	v_add_f64 v[16:17], v[142:143], v[16:17]
	v_mul_f64 v[142:143], v[235:236], s[22:23]
	;; [unrolled: 2-line block ×3, first 2 shown]
	v_fma_f64 v[144:145], v[233:234], s[2:3], -v[142:143]
	v_fma_f64 v[142:143], v[233:234], s[2:3], v[142:143]
	v_add_f64 v[20:21], v[144:145], v[20:21]
	v_fma_f64 v[144:145], v[251:252], s[18:19], v[138:139]
	v_fma_f64 v[138:139], v[251:252], s[18:19], -v[138:139]
	v_add_f64 v[18:19], v[142:143], v[18:19]
	v_add_f64 v[16:17], v[144:145], v[16:17]
	v_mul_f64 v[144:145], v[188:189], s[20:21]
	v_add_f64 v[10:11], v[138:139], v[10:11]
	v_mul_f64 v[138:139], v[241:242], s[58:59]
	v_fma_f64 v[146:147], v[190:191], s[18:19], -v[144:145]
	v_fma_f64 v[142:143], v[239:240], s[24:25], v[138:139]
	v_fma_f64 v[138:139], v[239:240], s[24:25], -v[138:139]
	v_add_f64 v[8:9], v[146:147], v[8:9]
	v_fma_f64 v[146:147], v[213:214], s[28:29], v[140:141]
	v_fma_f64 v[140:141], v[213:214], s[28:29], -v[140:141]
	v_add_f64 v[116:117], v[146:147], v[116:117]
	v_mul_f64 v[146:147], v[194:195], s[48:49]
	v_add_f64 v[22:23], v[140:141], v[22:23]
	v_fma_f64 v[140:141], v[196:197], s[2:3], v[146:147]
	v_fma_f64 v[148:149], v[196:197], s[2:3], -v[146:147]
	v_add_f64 v[14:15], v[140:141], v[14:15]
	v_mul_f64 v[140:141], v[217:218], s[36:37]
	;; [unrolled: 5-line block ×3, first 2 shown]
	v_add_f64 v[118:119], v[140:141], v[118:119]
	v_mul_f64 v[140:141], v[231:232], s[20:21]
	v_fma_f64 v[148:149], v[196:197], s[30:31], -v[146:147]
	v_fma_f64 v[146:147], v[196:197], s[30:31], v[146:147]
	v_add_f64 v[8:9], v[148:149], v[8:9]
	v_fma_f64 v[148:149], v[229:230], s[18:19], v[140:141]
	v_fma_f64 v[140:141], v[229:230], s[18:19], -v[140:141]
	v_add_f64 v[116:117], v[148:149], v[116:117]
	v_mul_f64 v[148:149], v[208:209], s[46:47]
	v_add_f64 v[22:23], v[140:141], v[22:23]
	v_mul_f64 v[140:141], v[204:205], s[20:21]
	v_add_f64 v[116:117], v[142:143], v[116:117]
	v_fma_f64 v[154:155], v[210:211], s[28:29], -v[148:149]
	v_fma_f64 v[148:149], v[210:211], s[28:29], v[148:149]
	v_mul_f64 v[142:143], v[221:222], s[20:21]
	v_add_f64 v[22:23], v[138:139], v[22:23]
	v_mul_f64 v[138:139], v[200:201], s[8:9]
	v_add_f64 v[12:13], v[154:155], v[12:13]
	v_fma_f64 v[154:155], v[243:244], s[18:19], -v[140:141]
	v_add_f64 v[14:15], v[148:149], v[14:15]
	v_mul_f64 v[148:149], v[215:216], s[50:51]
	v_fma_f64 v[140:141], v[243:244], s[18:19], v[140:141]
	v_add_f64 v[20:21], v[154:155], v[20:21]
	v_fma_f64 v[154:155], v[213:214], s[42:43], v[148:149]
	v_fma_f64 v[148:149], v[213:214], s[42:43], -v[148:149]
	v_add_f64 v[18:19], v[140:141], v[18:19]
	v_mul_f64 v[140:141], v[219:220], s[44:45]
	v_add_f64 v[136:137], v[154:155], v[136:137]
	v_add_f64 v[118:119], v[148:149], v[118:119]
	v_fma_f64 v[148:149], v[223:224], s[18:19], -v[142:143]
	v_fma_f64 v[142:143], v[223:224], s[18:19], v[142:143]
	v_mul_f64 v[154:155], v[208:209], s[50:51]
	v_add_f64 v[12:13], v[148:149], v[12:13]
	s_clause 0x1
	buffer_load_dword v148, off, s[60:63], 0 offset:300
	buffer_load_dword v149, off, s[60:63], 0 offset:304
	v_add_f64 v[14:15], v[142:143], v[14:15]
	v_mul_f64 v[142:143], v[231:232], s[46:47]
	v_fma_f64 v[156:157], v[210:211], s[42:43], -v[154:155]
	v_fma_f64 v[154:155], v[210:211], s[42:43], v[154:155]
	v_add_f64 v[8:9], v[156:157], v[8:9]
	s_waitcnt vmcnt(0)
	v_add_f64 v[138:139], v[148:149], -v[138:139]
	v_fma_f64 v[148:149], v[229:230], s[28:29], v[142:143]
	v_fma_f64 v[142:143], v[229:230], s[28:29], -v[142:143]
	v_add_f64 v[138:139], v[138:139], v[152:153]
	v_add_f64 v[136:137], v[148:149], v[136:137]
	v_mul_f64 v[148:149], v[221:222], s[46:47]
	v_add_f64 v[118:119], v[142:143], v[118:119]
	v_fma_f64 v[142:143], v[251:252], s[42:43], v[140:141]
	v_fma_f64 v[140:141], v[251:252], s[42:43], -v[140:141]
	v_fma_f64 v[156:157], v[223:224], s[28:29], -v[148:149]
	v_fma_f64 v[148:149], v[223:224], s[28:29], v[148:149]
	v_add_f64 v[160:161], v[142:143], v[116:117]
	v_mul_f64 v[116:117], v[235:236], s[58:59]
	v_add_f64 v[22:23], v[140:141], v[22:23]
	v_add_f64 v[8:9], v[156:157], v[8:9]
	s_clause 0x3
	buffer_load_dword v156, off, s[60:63], 0 offset:292
	buffer_load_dword v157, off, s[60:63], 0 offset:296
	;; [unrolled: 1-line block ×4, first 2 shown]
	v_fma_f64 v[142:143], v[233:234], s[24:25], -v[116:117]
	v_fma_f64 v[116:117], v[233:234], s[24:25], v[116:117]
	v_add_f64 v[12:13], v[142:143], v[12:13]
	v_add_f64 v[14:15], v[116:117], v[14:15]
	v_mul_f64 v[116:117], v[241:242], s[52:53]
	v_mul_f64 v[142:143], v[217:218], s[34:35]
	v_fma_f64 v[140:141], v[239:240], s[26:27], v[116:117]
	v_fma_f64 v[116:117], v[239:240], s[26:27], -v[116:117]
	v_add_f64 v[136:137], v[140:141], v[136:137]
	v_mul_f64 v[140:141], v[200:201], s[10:11]
	v_add_f64 v[116:117], v[116:117], v[118:119]
	v_fma_f64 v[118:119], v[190:191], s[18:19], v[144:145]
	v_mul_f64 v[144:145], v[190:191], s[16:17]
	v_add_f64 v[118:119], v[118:119], v[150:151]
	s_clause 0x1
	buffer_load_dword v150, off, s[60:63], 0 offset:268
	buffer_load_dword v151, off, s[60:63], 0 offset:272
	v_add_f64 v[118:119], v[146:147], v[118:119]
	v_add_f64 v[118:119], v[154:155], v[118:119]
	v_mul_f64 v[154:155], v[241:242], s[44:45]
	v_add_f64 v[118:119], v[148:149], v[118:119]
	s_waitcnt vmcnt(4)
	v_add_f64 v[142:143], v[156:157], -v[142:143]
	s_waitcnt vmcnt(2)
	v_add_f64 v[140:141], v[152:153], -v[140:141]
	v_mul_f64 v[152:153], v[235:236], s[52:53]
	v_add_f64 v[138:139], v[142:143], v[138:139]
	v_mul_f64 v[142:143], v[190:191], s[24:25]
	v_fma_f64 v[156:157], v[233:234], s[26:27], -v[152:153]
	v_fma_f64 v[152:153], v[233:234], s[26:27], v[152:153]
	v_mul_f64 v[190:191], v[204:205], s[56:57]
	v_add_f64 v[8:9], v[156:157], v[8:9]
	s_clause 0x1
	buffer_load_dword v156, off, s[60:63], 0 offset:284
	buffer_load_dword v157, off, s[60:63], 0 offset:288
	v_add_f64 v[118:119], v[152:153], v[118:119]
	v_mul_f64 v[152:153], v[219:220], s[52:53]
	s_waitcnt vmcnt(2)
	v_add_f64 v[144:145], v[144:145], v[150:151]
	v_mul_f64 v[150:151], v[215:216], s[36:37]
	s_waitcnt vmcnt(0)
	v_add_f64 v[150:151], v[156:157], -v[150:151]
	s_clause 0x3
	buffer_load_dword v156, off, s[60:63], 0 offset:348
	buffer_load_dword v157, off, s[60:63], 0 offset:352
	;; [unrolled: 1-line block ×4, first 2 shown]
	v_add_f64 v[138:139], v[150:151], v[138:139]
	s_waitcnt vmcnt(2)
	v_add_f64 v[142:143], v[142:143], v[156:157]
	v_mul_f64 v[156:157], v[210:211], s[30:31]
	s_waitcnt vmcnt(0)
	v_add_f64 v[156:157], v[156:157], v[158:159]
	v_mul_f64 v[158:159], v[217:218], s[8:9]
	v_add_f64 v[158:159], v[4:5], -v[158:159]
	s_clause 0x3
	buffer_load_dword v4, off, s[60:63], 0 offset:396
	buffer_load_dword v5, off, s[60:63], 0 offset:400
	;; [unrolled: 1-line block ×4, first 2 shown]
	s_waitcnt vmcnt(2)
	v_add_f64 v[4:5], v[140:141], v[4:5]
	v_mul_f64 v[140:141], v[196:197], s[18:19]
	v_add_f64 v[4:5], v[158:159], v[4:5]
	s_waitcnt vmcnt(0)
	v_add_f64 v[140:141], v[140:141], v[162:163]
	s_clause 0x3
	buffer_load_dword v162, off, s[60:63], 0 offset:380
	buffer_load_dword v163, off, s[60:63], 0 offset:384
	;; [unrolled: 1-line block ×4, first 2 shown]
	s_waitcnt vmcnt(2)
	v_add_f64 v[144:145], v[144:145], v[162:163]
	v_mul_f64 v[162:163], v[196:197], s[16:17]
	v_add_f64 v[140:141], v[140:141], v[144:145]
	s_waitcnt vmcnt(0)
	v_add_f64 v[162:163], v[162:163], v[164:165]
	s_clause 0x5
	buffer_load_dword v164, off, s[60:63], 0 offset:372
	buffer_load_dword v165, off, s[60:63], 0 offset:376
	;; [unrolled: 1-line block ×6, first 2 shown]
	v_mul_f64 v[144:145], v[231:232], s[48:49]
	v_add_f64 v[140:141], v[156:157], v[140:141]
	s_waitcnt vmcnt(4)
	v_add_f64 v[142:143], v[142:143], v[164:165]
	v_mul_f64 v[164:165], v[215:216], s[20:21]
	v_add_f64 v[142:143], v[162:163], v[142:143]
	s_waitcnt vmcnt(2)
	v_add_f64 v[164:165], v[166:167], -v[164:165]
	v_mul_f64 v[166:167], v[200:201], s[22:23]
	v_mul_f64 v[162:163], v[217:218], s[46:47]
	;; [unrolled: 1-line block ×3, first 2 shown]
	v_add_f64 v[4:5], v[164:165], v[4:5]
	v_fma_f64 v[168:169], v[192:193], s[2:3], -v[166:167]
	v_mul_f64 v[164:165], v[223:224], s[26:27]
	v_fma_f64 v[166:167], v[192:193], s[2:3], v[166:167]
	s_waitcnt vmcnt(0)
	v_add_f64 v[158:159], v[168:169], v[158:159]
	s_clause 0xb
	buffer_load_dword v168, off, s[60:63], 0 offset:364
	buffer_load_dword v169, off, s[60:63], 0 offset:368
	;; [unrolled: 1-line block ×12, first 2 shown]
	s_waitcnt vmcnt(10)
	v_add_f64 v[168:169], v[172:173], v[168:169]
	v_mul_f64 v[172:173], v[210:211], s[18:19]
	s_waitcnt vmcnt(6)
	v_add_f64 v[166:167], v[166:167], v[176:177]
	v_mul_f64 v[176:177], v[194:195], s[46:47]
	s_waitcnt vmcnt(2)
	v_add_f64 v[144:145], v[146:147], -v[144:145]
	v_mul_f64 v[146:147], v[223:224], s[2:3]
	v_add_f64 v[170:171], v[170:171], v[188:189]
	v_fma_f64 v[194:195], v[243:244], s[16:17], -v[190:191]
	v_fma_f64 v[190:191], v[243:244], s[16:17], v[190:191]
	v_add_f64 v[172:173], v[172:173], v[174:175]
	v_fma_f64 v[174:175], v[198:199], s[28:29], -v[162:163]
	v_fma_f64 v[162:163], v[198:199], s[28:29], v[162:163]
	v_add_f64 v[138:139], v[144:145], v[138:139]
	s_waitcnt vmcnt(0)
	v_add_f64 v[146:147], v[146:147], v[150:151]
	v_mul_f64 v[150:151], v[231:232], s[38:39]
	v_mul_f64 v[144:145], v[233:234], s[42:43]
	v_fma_f64 v[178:179], v[196:197], s[28:29], v[176:177]
	v_fma_f64 v[176:177], v[196:197], s[28:29], -v[176:177]
	v_mul_f64 v[196:197], v[227:228], s[40:41]
	v_mul_f64 v[198:199], v[227:228], s[8:9]
	v_add_f64 v[190:191], v[190:191], v[118:119]
	v_add_f64 v[8:9], v[194:195], v[8:9]
	v_fma_f64 v[194:195], v[249:250], s[18:19], v[202:203]
	v_add_f64 v[142:143], v[172:173], v[142:143]
	v_add_f64 v[158:159], v[174:175], v[158:159]
	s_clause 0x1
	buffer_load_dword v174, off, s[60:63], 0 offset:316
	buffer_load_dword v175, off, s[60:63], 0 offset:320
	v_add_f64 v[162:163], v[162:163], v[166:167]
	v_add_f64 v[140:141], v[146:147], v[140:141]
	v_mul_f64 v[146:147], v[219:220], s[10:11]
	v_mul_f64 v[166:167], v[208:209], s[10:11]
	v_add_f64 v[168:169], v[178:179], v[168:169]
	v_add_f64 v[170:171], v[176:177], v[170:171]
	v_fma_f64 v[188:189], v[210:211], s[24:25], v[166:167]
	v_fma_f64 v[166:167], v[210:211], s[24:25], -v[166:167]
	v_add_f64 v[168:169], v[188:189], v[168:169]
	v_add_f64 v[166:167], v[166:167], v[170:171]
	v_mul_f64 v[188:189], v[204:205], s[52:53]
	v_fma_f64 v[192:193], v[243:244], s[26:27], v[188:189]
	v_fma_f64 v[188:189], v[243:244], s[26:27], -v[188:189]
	s_waitcnt vmcnt(0)
	v_add_f64 v[150:151], v[174:175], -v[150:151]
	s_clause 0x3
	buffer_load_dword v174, off, s[60:63], 0 offset:308
	buffer_load_dword v175, off, s[60:63], 0 offset:312
	;; [unrolled: 1-line block ×4, first 2 shown]
	v_add_f64 v[4:5], v[150:151], v[4:5]
	v_mul_f64 v[150:151], v[233:234], s[30:31]
	s_waitcnt vmcnt(2)
	v_add_f64 v[164:165], v[164:165], v[174:175]
	s_waitcnt vmcnt(0)
	v_add_f64 v[154:155], v[156:157], -v[154:155]
	s_clause 0x3
	buffer_load_dword v156, off, s[60:63], 0 offset:228
	buffer_load_dword v157, off, s[60:63], 0 offset:232
	;; [unrolled: 1-line block ×4, first 2 shown]
	v_mul_f64 v[174:175], v[215:216], s[10:11]
	v_add_f64 v[142:143], v[164:165], v[142:143]
	v_add_f64 v[138:139], v[154:155], v[138:139]
	v_fma_f64 v[178:179], v[213:214], s[24:25], -v[174:175]
	v_fma_f64 v[174:175], v[213:214], s[24:25], v[174:175]
	v_add_f64 v[158:159], v[178:179], v[158:159]
	v_add_f64 v[162:163], v[174:175], v[162:163]
	v_mul_f64 v[174:175], v[221:222], s[54:55]
	v_fma_f64 v[178:179], v[223:224], s[30:31], v[174:175]
	v_fma_f64 v[174:175], v[223:224], s[30:31], -v[174:175]
	v_add_f64 v[168:169], v[178:179], v[168:169]
	v_mul_f64 v[178:179], v[219:220], s[56:57]
	v_add_f64 v[166:167], v[174:175], v[166:167]
	v_mul_f64 v[174:175], v[204:205], s[44:45]
	s_waitcnt vmcnt(2)
	v_add_f64 v[144:145], v[144:145], v[156:157]
	v_mul_f64 v[156:157], v[241:242], s[36:37]
	v_add_f64 v[140:141], v[144:145], v[140:141]
	s_waitcnt vmcnt(0)
	v_add_f64 v[156:157], v[172:173], -v[156:157]
	s_clause 0x7
	buffer_load_dword v172, off, s[60:63], 0 offset:148
	buffer_load_dword v173, off, s[60:63], 0 offset:152
	;; [unrolled: 1-line block ×8, first 2 shown]
	v_mul_f64 v[144:145], v[227:228], s[50:51]
	v_add_f64 v[4:5], v[156:157], v[4:5]
	v_mul_f64 v[156:157], v[243:244], s[28:29]
	s_waitcnt vmcnt(6)
	v_add_f64 v[150:151], v[150:151], v[172:173]
	s_waitcnt vmcnt(4)
	v_add_f64 v[146:147], v[148:149], -v[146:147]
	v_mul_f64 v[148:149], v[243:244], s[24:25]
	v_mul_f64 v[172:173], v[231:232], s[54:55]
	v_add_f64 v[142:143], v[150:151], v[142:143]
	v_add_f64 v[146:147], v[146:147], v[138:139]
	s_waitcnt vmcnt(2)
	v_add_f64 v[148:149], v[148:149], v[154:155]
	v_mul_f64 v[154:155], v[219:220], s[40:41]
	v_fma_f64 v[176:177], v[229:230], s[30:31], -v[172:173]
	v_fma_f64 v[172:173], v[229:230], s[30:31], v[172:173]
	v_mul_f64 v[150:151], v[245:246], s[26:27]
	v_add_f64 v[140:141], v[148:149], v[140:141]
	s_waitcnt vmcnt(0)
	v_add_f64 v[154:155], v[164:165], -v[154:155]
	s_clause 0x1
	buffer_load_dword v164, off, s[60:63], 0 offset:172
	buffer_load_dword v165, off, s[60:63], 0 offset:176
	v_add_f64 v[158:159], v[176:177], v[158:159]
	v_mul_f64 v[176:177], v[235:236], s[8:9]
	v_add_f64 v[162:163], v[172:173], v[162:163]
	v_fma_f64 v[148:149], v[249:250], s[16:17], -v[198:199]
	v_fma_f64 v[198:199], v[249:250], s[16:17], v[198:199]
	v_add_f64 v[154:155], v[154:155], v[4:5]
	v_fma_f64 v[4:5], v[251:252], s[26:27], -v[152:153]
	v_fma_f64 v[152:153], v[251:252], s[26:27], v[152:153]
	v_fma_f64 v[172:173], v[233:234], s[16:17], v[176:177]
	v_fma_f64 v[176:177], v[233:234], s[16:17], -v[176:177]
	v_add_f64 v[168:169], v[172:173], v[168:169]
	v_mul_f64 v[172:173], v[227:228], s[52:53]
	v_add_f64 v[166:167], v[176:177], v[166:167]
	v_mul_f64 v[176:177], v[206:207], s[20:21]
	v_add_f64 v[168:169], v[192:193], v[168:169]
	v_fma_f64 v[208:209], v[245:246], s[18:19], v[176:177]
	v_fma_f64 v[176:177], v[245:246], s[18:19], -v[176:177]
	s_waitcnt vmcnt(0)
	v_add_f64 v[156:157], v[156:157], v[164:165]
	v_mul_f64 v[164:165], v[241:242], s[8:9]
	v_add_f64 v[192:193], v[156:157], v[142:143]
	v_fma_f64 v[170:171], v[239:240], s[16:17], -v[164:165]
	v_fma_f64 v[142:143], v[249:250], s[28:29], -v[196:197]
	v_fma_f64 v[164:165], v[239:240], s[16:17], v[164:165]
	v_add_f64 v[158:159], v[170:171], v[158:159]
	v_fma_f64 v[170:171], v[251:252], s[16:17], -v[178:179]
	v_add_f64 v[162:163], v[164:165], v[162:163]
	v_mul_f64 v[164:165], v[227:228], s[48:49]
	v_fma_f64 v[178:179], v[251:252], s[16:17], v[178:179]
	v_add_f64 v[118:119], v[142:143], v[10:11]
	v_add_f64 v[10:11], v[188:189], v[166:167]
	;; [unrolled: 1-line block ×4, first 2 shown]
	s_clause 0x3
	buffer_load_dword v170, off, s[60:63], 0 offset:204
	buffer_load_dword v171, off, s[60:63], 0 offset:208
	;; [unrolled: 1-line block ×4, first 2 shown]
	v_fma_f64 v[4:5], v[249:250], s[28:29], v[196:197]
	v_fma_f64 v[196:197], v[249:250], s[18:19], -v[202:203]
	v_fma_f64 v[156:157], v[249:250], s[2:3], -v[164:165]
	v_add_f64 v[178:179], v[178:179], v[136:137]
	v_fma_f64 v[164:165], v[249:250], s[2:3], v[164:165]
	v_add_f64 v[202:203], v[152:153], v[162:163]
	v_add_f64 v[152:153], v[208:209], v[168:169]
	;; [unrolled: 1-line block ×8, first 2 shown]
	s_waitcnt vmcnt(2)
	v_add_f64 v[170:171], v[170:171], -v[172:173]
	s_waitcnt vmcnt(0)
	v_add_f64 v[172:173], v[150:151], v[138:139]
	s_clause 0x3
	buffer_load_dword v150, off, s[60:63], 0 offset:188
	buffer_load_dword v151, off, s[60:63], 0 offset:192
	buffer_load_dword v204, off, s[60:63], 0 offset:164
	buffer_load_dword v205, off, s[60:63], 0 offset:168
	v_mul_f64 v[138:139], v[245:246], s[42:43]
	v_add_f64 v[146:147], v[170:171], v[146:147]
	v_add_f64 v[170:171], v[194:195], v[202:203]
	s_waitcnt vmcnt(2)
	v_add_f64 v[144:145], v[150:151], -v[144:145]
	v_fma_f64 v[150:151], v[243:244], s[42:43], -v[174:175]
	s_waitcnt vmcnt(0)
	v_add_f64 v[204:205], v[138:139], v[204:205]
	v_mul_f64 v[138:139], v[206:207], s[48:49]
	v_fma_f64 v[174:175], v[243:244], s[42:43], v[174:175]
	v_mul_f64 v[206:207], v[206:207], s[8:9]
	v_add_f64 v[12:13], v[150:151], v[12:13]
	v_add_f64 v[150:151], v[144:145], v[154:155]
	;; [unrolled: 1-line block ×4, first 2 shown]
	buffer_load_dword v1, off, s[60:63], 0  ; 4-byte Folded Reload
	v_fma_f64 v[136:137], v[245:246], s[2:3], v[138:139]
	v_add_f64 v[14:15], v[174:175], v[14:15]
	v_fma_f64 v[210:211], v[245:246], s[16:17], v[206:207]
	v_fma_f64 v[174:175], v[245:246], s[28:29], -v[200:201]
	v_fma_f64 v[200:201], v[245:246], s[28:29], v[200:201]
	v_fma_f64 v[206:207], v[245:246], s[16:17], -v[206:207]
	v_fma_f64 v[213:214], v[245:246], s[2:3], -v[138:139]
	v_add_f64 v[138:139], v[148:149], v[22:23]
	v_add_f64 v[148:149], v[204:205], v[192:193]
	;; [unrolled: 1-line block ×3, first 2 shown]
	v_mul_lo_u16 v0, v255, 17
	v_and_b32_e32 v0, 0xffff, v0
	v_add_f64 v[140:141], v[136:137], v[190:191]
	v_add_f64 v[136:137], v[210:211], v[14:15]
	;; [unrolled: 1-line block ×6, first 2 shown]
	s_waitcnt vmcnt(0)
	v_lshl_add_u32 v0, v0, 4, v1
	ds_write_b128 v0, v[156:159]
	ds_write_b128 v0, v[152:155] offset:16
	ds_write_b128 v0, v[148:151] offset:32
	;; [unrolled: 1-line block ×16, first 2 shown]
.LBB0_17:
	s_or_b32 exec_lo, exec_lo, s1
	s_waitcnt lgkmcnt(0)
	s_waitcnt_vscnt null, 0x0
	s_barrier
	buffer_gl0_inv
	ds_read_b128 v[116:119], v6
	ds_read_b128 v[120:123], v6 offset:544
	ds_read_b128 v[140:143], v6 offset:4624
	;; [unrolled: 1-line block ×13, first 2 shown]
	s_and_saveexec_b32 s1, s0
	s_cbranch_execz .LBB0_19
; %bb.18:
	ds_read_b128 v[184:187], v6 offset:3808
	ds_read_b128 v[180:183], v6 offset:7888
.LBB0_19:
	s_or_b32 exec_lo, exec_lo, s1
	s_clause 0x13
	buffer_load_dword v176, off, s[60:63], 0 offset:24
	buffer_load_dword v177, off, s[60:63], 0 offset:28
	;; [unrolled: 1-line block ×20, first 2 shown]
	s_waitcnt lgkmcnt(6)
	v_mul_f64 v[22:23], v[34:35], v[154:155]
	v_mul_f64 v[34:35], v[34:35], v[152:153]
	s_waitcnt lgkmcnt(0)
	v_mul_f64 v[170:171], v[30:31], v[158:159]
	v_mul_f64 v[30:31], v[30:31], v[156:157]
	s_waitcnt vmcnt(0)
	s_barrier
	buffer_gl0_inv
	v_fma_f64 v[152:153], v[32:33], v[152:153], v[22:23]
	v_fma_f64 v[32:33], v[32:33], v[154:155], -v[34:35]
	v_fma_f64 v[156:157], v[28:29], v[156:157], v[170:171]
	v_fma_f64 v[158:159], v[28:29], v[158:159], -v[30:31]
	v_mul_f64 v[4:5], v[178:179], v[166:167]
	v_mul_f64 v[12:13], v[174:175], v[140:141]
	;; [unrolled: 1-line block ×10, first 2 shown]
	v_fma_f64 v[4:5], v[176:177], v[164:165], v[4:5]
	v_fma_f64 v[142:143], v[172:173], v[142:143], -v[12:13]
	v_fma_f64 v[140:141], v[172:173], v[140:141], v[10:11]
	v_fma_f64 v[144:145], v[192:193], v[144:145], v[14:15]
	;; [unrolled: 1-line block ×3, first 2 shown]
	v_fma_f64 v[146:147], v[192:193], v[146:147], -v[16:17]
	v_fma_f64 v[164:165], v[176:177], v[166:167], -v[8:9]
	v_fma_f64 v[148:149], v[188:189], v[148:149], v[18:19]
	v_fma_f64 v[150:151], v[188:189], v[150:151], -v[20:21]
	v_fma_f64 v[154:155], v[24:25], v[162:163], -v[26:27]
	v_add_f64 v[24:25], v[136:137], -v[152:153]
	v_add_f64 v[26:27], v[138:139], -v[32:33]
	;; [unrolled: 1-line block ×13, first 2 shown]
	v_fma_f64 v[136:137], v[136:137], 2.0, -v[24:25]
	v_fma_f64 v[138:139], v[138:139], 2.0, -v[26:27]
	v_add_f64 v[30:31], v[134:135], -v[154:155]
	v_fma_f64 v[140:141], v[0:1], 2.0, -v[32:33]
	v_add_nc_u32_e32 v1, 0x220, v7
	v_add_nc_u32_e32 v0, 0x440, v7
	v_fma_f64 v[116:117], v[116:117], 2.0, -v[8:9]
	v_fma_f64 v[122:123], v[122:123], 2.0, -v[14:15]
	;; [unrolled: 1-line block ×6, first 2 shown]
	buffer_load_dword v2, off, s[60:63], 0 offset:72 ; 4-byte Folded Reload
	v_fma_f64 v[118:119], v[118:119], 2.0, -v[10:11]
	v_fma_f64 v[130:131], v[130:131], 2.0, -v[18:19]
	;; [unrolled: 1-line block ×4, first 2 shown]
	s_waitcnt vmcnt(0)
	ds_write_b128 v2, v[8:11] offset:272
	ds_write_b128 v2, v[116:119]
	buffer_load_dword v2, off, s[60:63], 0 offset:96 ; 4-byte Folded Reload
	v_fma_f64 v[134:135], v[134:135], 2.0, -v[30:31]
	s_waitcnt vmcnt(0)
	ds_write_b128 v2, v[120:123]
	ds_write_b128 v2, v[12:15] offset:272
	buffer_load_dword v2, off, s[60:63], 0 offset:92 ; 4-byte Folded Reload
	s_waitcnt vmcnt(0)
	ds_write_b128 v2, v[128:131]
	ds_write_b128 v2, v[16:19] offset:272
	buffer_load_dword v2, off, s[60:63], 0 offset:88 ; 4-byte Folded Reload
	;; [unrolled: 4-line block ×5, first 2 shown]
	s_waitcnt vmcnt(0)
	ds_write_b128 v2, v[140:143]
	ds_write_b128 v2, v[32:35] offset:272
	s_and_saveexec_b32 s1, s0
	s_cbranch_execz .LBB0_21
; %bb.20:
	s_clause 0x5
	buffer_load_dword v8, off, s[60:63], 0 offset:132
	buffer_load_dword v9, off, s[60:63], 0 offset:136
	;; [unrolled: 1-line block ×4, first 2 shown]
	buffer_load_dword v12, off, s[60:63], 0
	buffer_load_dword v13, off, s[60:63], 0 offset:4
	s_waitcnt vmcnt(2)
	v_mul_f64 v[2:3], v[10:11], v[180:181]
	v_mul_f64 v[4:5], v[10:11], v[182:183]
	s_waitcnt vmcnt(0)
	v_lshl_add_u32 v12, v13, 4, v12
	v_fma_f64 v[2:3], v[8:9], v[182:183], -v[2:3]
	v_fma_f64 v[8:9], v[8:9], v[180:181], v[4:5]
	v_add_f64 v[4:5], v[186:187], -v[2:3]
	v_add_f64 v[2:3], v[184:185], -v[8:9]
	v_fma_f64 v[10:11], v[186:187], 2.0, -v[4:5]
	v_fma_f64 v[8:9], v[184:185], 2.0, -v[2:3]
	ds_write_b128 v12, v[8:11] offset:7616
	ds_write_b128 v12, v[2:5] offset:7888
.LBB0_21:
	s_or_b32 exec_lo, exec_lo, s1
	s_waitcnt lgkmcnt(0)
	s_barrier
	buffer_gl0_inv
	ds_read_b128 v[2:5], v6 offset:2720
	ds_read_b128 v[8:11], v6 offset:5440
	;; [unrolled: 1-line block ×7, first 2 shown]
	ds_read_b128 v[32:35], v6
	ds_read_b128 v[116:119], v6 offset:544
	ds_read_b128 v[120:123], v6 offset:7072
	;; [unrolled: 1-line block ×7, first 2 shown]
	s_mov_b32 s0, 0xe8584caa
	s_mov_b32 s1, 0xbfebb67a
	;; [unrolled: 1-line block ×4, first 2 shown]
	s_waitcnt lgkmcnt(0)
	s_barrier
	v_mul_f64 v[144:145], v[38:39], v[4:5]
	v_mul_f64 v[146:147], v[42:43], v[10:11]
	;; [unrolled: 1-line block ×20, first 2 shown]
	buffer_gl0_inv
	s_mov_b32 s8, 0x134454ff
	v_fma_f64 v[2:3], v[36:37], v[2:3], v[144:145]
	v_fma_f64 v[8:9], v[40:41], v[8:9], v[146:147]
	v_fma_f64 v[4:5], v[36:37], v[4:5], -v[148:149]
	v_fma_f64 v[10:11], v[40:41], v[10:11], -v[150:151]
	v_fma_f64 v[12:13], v[36:37], v[12:13], v[152:153]
	v_fma_f64 v[16:17], v[40:41], v[16:17], v[154:155]
	v_fma_f64 v[14:15], v[36:37], v[14:15], -v[38:39]
	v_fma_f64 v[36:37], v[40:41], v[18:19], -v[42:43]
	;; [unrolled: 4-line block ×3, first 2 shown]
	v_fma_f64 v[22:23], v[72:73], v[28:29], v[160:161]
	v_fma_f64 v[24:25], v[72:73], v[30:31], -v[74:75]
	v_fma_f64 v[42:43], v[64:65], v[120:121], v[162:163]
	v_fma_f64 v[58:59], v[64:65], v[122:123], -v[66:67]
	;; [unrolled: 2-line block ×4, first 2 shown]
	s_mov_b32 s9, 0xbfee6f0e
	s_mov_b32 s17, 0x3fee6f0e
	v_add_f64 v[60:61], v[32:33], v[2:3]
	v_add_f64 v[30:31], v[2:3], v[8:9]
	v_add_f64 v[72:73], v[2:3], -v[8:9]
	v_add_f64 v[56:57], v[4:5], v[10:11]
	v_add_f64 v[68:69], v[4:5], -v[10:11]
	v_add_f64 v[62:63], v[12:13], v[16:17]
	v_add_f64 v[4:5], v[34:35], v[4:5]
	;; [unrolled: 1-line block ×5, first 2 shown]
	v_add_f64 v[76:77], v[14:15], -v[36:37]
	v_add_f64 v[78:79], v[118:119], v[14:15]
	v_add_f64 v[14:15], v[20:21], v[40:41]
	v_add_f64 v[120:121], v[12:13], -v[16:17]
	v_add_f64 v[122:123], v[136:137], v[18:19]
	v_add_f64 v[12:13], v[22:23], v[42:43]
	v_add_f64 v[144:145], v[18:19], -v[38:39]
	v_add_f64 v[128:129], v[20:21], -v[40:41]
	v_add_f64 v[130:131], v[138:139], v[20:21]
	v_add_f64 v[20:21], v[24:25], v[58:59]
	;; [unrolled: 1-line block ×3, first 2 shown]
	v_add_f64 v[150:151], v[26:27], -v[64:65]
	v_add_f64 v[134:135], v[28:29], v[66:67]
	v_fma_f64 v[30:31], v[30:31], -0.5, v[32:33]
	v_add_f64 v[146:147], v[28:29], -v[66:67]
	v_fma_f64 v[18:19], v[56:57], -0.5, v[34:35]
	v_add_f64 v[56:57], v[140:141], v[22:23]
	v_fma_f64 v[32:33], v[62:63], -0.5, v[116:117]
	v_add_f64 v[4:5], v[4:5], v[10:11]
	v_fma_f64 v[34:35], v[70:71], -0.5, v[118:119]
	v_add_f64 v[70:71], v[22:23], -v[42:43]
	v_fma_f64 v[136:137], v[2:3], -0.5, v[136:137]
	v_add_f64 v[2:3], v[60:61], v[8:9]
	v_add_f64 v[8:9], v[74:75], v[16:17]
	v_fma_f64 v[138:139], v[14:15], -0.5, v[138:139]
	v_add_f64 v[10:11], v[78:79], v[36:37]
	v_add_f64 v[62:63], v[24:25], -v[58:59]
	v_fma_f64 v[60:61], v[12:13], -0.5, v[140:141]
	v_add_f64 v[116:117], v[142:143], v[24:25]
	v_add_f64 v[118:119], v[124:125], v[26:27]
	v_add_f64 v[148:149], v[126:127], v[28:29]
	v_fma_f64 v[74:75], v[20:21], -0.5, v[142:143]
	v_add_f64 v[28:29], v[122:123], v[38:39]
	v_fma_f64 v[124:125], v[132:133], -0.5, v[124:125]
	v_fma_f64 v[126:127], v[134:135], -0.5, v[126:127]
	v_fma_f64 v[12:13], v[68:69], s[0:1], v[30:31]
	v_fma_f64 v[16:17], v[68:69], s[2:3], v[30:31]
	;; [unrolled: 1-line block ×8, first 2 shown]
	v_add_f64 v[30:31], v[130:131], v[40:41]
	v_fma_f64 v[32:33], v[128:129], s[0:1], v[136:137]
	v_fma_f64 v[36:37], v[128:129], s[2:3], v[136:137]
	;; [unrolled: 1-line block ×4, first 2 shown]
	v_add_f64 v[40:41], v[56:57], v[42:43]
	v_fma_f64 v[56:57], v[62:63], s[0:1], v[60:61]
	v_add_f64 v[42:43], v[116:117], v[58:59]
	v_fma_f64 v[60:61], v[62:63], s[2:3], v[60:61]
	v_add_f64 v[64:65], v[118:119], v[64:65]
	ds_write_b128 v6, v[2:5]
	ds_write_b128 v6, v[12:15] offset:544
	ds_write_b128 v6, v[16:19] offset:1088
	;; [unrolled: 1-line block ×5, first 2 shown]
	buffer_load_dword v2, off, s[60:63], 0 offset:108 ; 4-byte Folded Reload
	v_fma_f64 v[58:59], v[70:71], s[2:3], v[74:75]
	v_fma_f64 v[62:63], v[70:71], s[0:1], v[74:75]
	v_add_f64 v[66:67], v[148:149], v[66:67]
	v_fma_f64 v[68:69], v[146:147], s[0:1], v[124:125]
	v_fma_f64 v[70:71], v[150:151], s[2:3], v[126:127]
	;; [unrolled: 1-line block ×4, first 2 shown]
	s_mov_b32 s16, s8
	s_mov_b32 s2, 0x4755a5e
	;; [unrolled: 1-line block ×7, first 2 shown]
	s_waitcnt vmcnt(0)
	ds_write_b128 v2, v[28:31] offset:3264
	ds_write_b128 v2, v[32:35] offset:3808
	;; [unrolled: 1-line block ×3, first 2 shown]
	buffer_load_dword v2, off, s[60:63], 0 offset:104 ; 4-byte Folded Reload
	s_waitcnt vmcnt(0)
	ds_write_b128 v2, v[40:43] offset:4896
	ds_write_b128 v2, v[56:59] offset:5440
	;; [unrolled: 1-line block ×3, first 2 shown]
	buffer_load_dword v2, off, s[60:63], 0 offset:100 ; 4-byte Folded Reload
	s_waitcnt vmcnt(0)
	ds_write_b128 v2, v[64:67] offset:6528
	ds_write_b128 v2, v[68:71] offset:7072
	;; [unrolled: 1-line block ×3, first 2 shown]
	s_waitcnt lgkmcnt(0)
	s_barrier
	buffer_gl0_inv
	ds_read_b128 v[2:5], v6 offset:3264
	ds_read_b128 v[8:11], v6 offset:4896
	;; [unrolled: 1-line block ×8, first 2 shown]
	s_waitcnt lgkmcnt(7)
	v_mul_f64 v[36:37], v[50:51], v[4:5]
	s_waitcnt lgkmcnt(6)
	v_mul_f64 v[38:39], v[54:55], v[10:11]
	;; [unrolled: 2-line block ×4, first 2 shown]
	v_mul_f64 v[50:51], v[50:51], v[2:3]
	v_mul_f64 v[54:55], v[54:55], v[8:9]
	;; [unrolled: 1-line block ×4, first 2 shown]
	s_waitcnt lgkmcnt(3)
	v_mul_f64 v[68:69], v[86:87], v[22:23]
	v_mul_f64 v[76:77], v[86:87], v[20:21]
	s_waitcnt lgkmcnt(2)
	v_mul_f64 v[86:87], v[94:95], v[26:27]
	s_waitcnt lgkmcnt(1)
	v_mul_f64 v[98:99], v[110:111], v[30:31]
	v_mul_f64 v[110:111], v[110:111], v[28:29]
	v_fma_f64 v[58:59], v[48:49], v[2:3], v[36:37]
	v_fma_f64 v[60:61], v[52:53], v[8:9], v[38:39]
	;; [unrolled: 1-line block ×4, first 2 shown]
	v_fma_f64 v[48:49], v[48:49], v[4:5], -v[50:51]
	v_fma_f64 v[50:51], v[52:53], v[10:11], -v[54:55]
	ds_read_b128 v[36:39], v6 offset:5440
	ds_read_b128 v[40:43], v6 offset:5984
	;; [unrolled: 1-line block ×4, first 2 shown]
	v_fma_f64 v[52:53], v[44:45], v[14:15], -v[46:47]
	ds_read_b128 v[12:15], v6
	v_fma_f64 v[54:55], v[96:97], v[18:19], -v[56:57]
	v_fma_f64 v[22:23], v[84:85], v[22:23], -v[76:77]
	ds_read_b128 v[16:19], v6 offset:544
	ds_read_b128 v[44:47], v6 offset:7616
	v_fma_f64 v[28:29], v[108:109], v[28:29], v[98:99]
	v_fma_f64 v[30:31], v[108:109], v[30:31], -v[110:111]
	v_add_f64 v[56:57], v[58:59], v[60:61]
	v_add_f64 v[66:67], v[62:63], v[64:65]
	s_waitcnt lgkmcnt(6)
	v_mul_f64 v[70:71], v[90:91], v[38:39]
	v_add_f64 v[78:79], v[48:49], v[50:51]
	s_waitcnt lgkmcnt(4)
	v_mul_f64 v[72:73], v[82:83], v[4:5]
	v_mul_f64 v[74:75], v[82:83], v[2:3]
	;; [unrolled: 1-line block ×3, first 2 shown]
	s_waitcnt lgkmcnt(2)
	v_add_f64 v[116:117], v[12:13], v[62:63]
	v_add_f64 v[120:121], v[48:49], -v[50:51]
	v_mul_f64 v[90:91], v[94:95], v[24:25]
	v_add_f64 v[118:119], v[52:53], -v[54:55]
	v_mul_f64 v[94:95], v[114:115], v[10:11]
	v_mul_f64 v[96:97], v[114:115], v[8:9]
	v_fma_f64 v[24:25], v[92:93], v[24:25], v[86:87]
	v_add_f64 v[76:77], v[52:53], v[54:55]
	v_mul_f64 v[114:115], v[106:107], v[42:43]
	v_mul_f64 v[106:107], v[106:107], v[40:41]
	v_fma_f64 v[56:57], v[56:57], -0.5, v[12:13]
	v_fma_f64 v[12:13], v[66:67], -0.5, v[12:13]
	v_fma_f64 v[36:37], v[88:89], v[36:37], v[70:71]
	v_fma_f64 v[66:67], v[84:85], v[20:21], v[68:69]
	;; [unrolled: 1-line block ×3, first 2 shown]
	v_add_f64 v[2:3], v[14:15], v[52:53]
	v_add_f64 v[72:73], v[62:63], -v[64:65]
	v_fma_f64 v[78:79], v[78:79], -0.5, v[14:15]
	v_add_f64 v[84:85], v[116:117], v[58:59]
	v_fma_f64 v[74:75], v[80:81], v[4:5], -v[74:75]
	v_fma_f64 v[38:39], v[88:89], v[38:39], -v[82:83]
	v_add_f64 v[4:5], v[62:63], -v[58:59]
	v_add_f64 v[80:81], v[64:65], -v[60:61]
	;; [unrolled: 1-line block ×4, first 2 shown]
	s_waitcnt lgkmcnt(0)
	v_mul_f64 v[20:21], v[102:103], v[46:47]
	v_mul_f64 v[68:69], v[102:103], v[44:45]
	v_fma_f64 v[26:27], v[92:93], v[26:27], -v[90:91]
	v_fma_f64 v[92:93], v[112:113], v[8:9], v[94:95]
	v_add_f64 v[8:9], v[58:59], -v[60:61]
	v_add_f64 v[58:59], v[52:53], -v[48:49]
	v_fma_f64 v[86:87], v[118:119], s[8:9], v[56:57]
	v_fma_f64 v[56:57], v[118:119], s[16:17], v[56:57]
	;; [unrolled: 1-line block ×4, first 2 shown]
	v_add_f64 v[90:91], v[66:67], v[36:37]
	v_add_f64 v[94:95], v[54:55], -v[50:51]
	v_add_f64 v[2:3], v[2:3], v[48:49]
	v_fma_f64 v[96:97], v[112:113], v[10:11], -v[96:97]
	v_fma_f64 v[102:103], v[72:73], s[16:17], v[78:79]
	v_fma_f64 v[78:79], v[72:73], s[8:9], v[78:79]
	v_add_f64 v[10:11], v[70:71], v[24:25]
	v_fma_f64 v[14:15], v[76:77], -0.5, v[14:15]
	v_add_f64 v[98:99], v[16:17], v[70:71]
	v_add_f64 v[60:61], v[84:85], v[60:61]
	;; [unrolled: 1-line block ×4, first 2 shown]
	v_fma_f64 v[40:41], v[104:105], v[40:41], v[114:115]
	v_fma_f64 v[42:43], v[104:105], v[42:43], -v[106:107]
	v_add_f64 v[76:77], v[74:75], -v[26:27]
	v_fma_f64 v[44:45], v[100:101], v[44:45], v[20:21]
	v_add_f64 v[48:49], v[48:49], -v[52:53]
	v_fma_f64 v[46:47], v[100:101], v[46:47], -v[68:69]
	v_fma_f64 v[80:81], v[120:121], s[2:3], v[86:87]
	v_fma_f64 v[56:57], v[120:121], s[10:11], v[56:57]
	;; [unrolled: 1-line block ×4, first 2 shown]
	v_fma_f64 v[86:87], v[90:91], -0.5, v[16:17]
	v_add_f64 v[58:59], v[58:59], v[94:95]
	v_add_f64 v[88:89], v[2:3], v[50:51]
	v_add_f64 v[94:95], v[22:23], -v[38:39]
	v_fma_f64 v[90:91], v[8:9], s[10:11], v[102:103]
	v_fma_f64 v[52:53], v[8:9], s[2:3], v[78:79]
	v_fma_f64 v[102:103], v[10:11], -0.5, v[16:17]
	v_fma_f64 v[68:69], v[8:9], s[8:9], v[14:15]
	v_add_f64 v[78:79], v[22:23], v[38:39]
	v_add_f64 v[50:51], v[50:51], -v[54:55]
	v_add_f64 v[98:99], v[98:99], v[66:67]
	v_add_f64 v[2:3], v[60:61], v[64:65]
	;; [unrolled: 1-line block ×3, first 2 shown]
	v_fma_f64 v[100:101], v[8:9], s[16:17], v[14:15]
	v_add_f64 v[64:65], v[24:25], -v[36:37]
	v_add_f64 v[108:109], v[92:93], -v[28:29]
	;; [unrolled: 1-line block ×4, first 2 shown]
	v_fma_f64 v[8:9], v[4:5], s[0:1], v[80:81]
	v_fma_f64 v[12:13], v[4:5], s[0:1], v[56:57]
	;; [unrolled: 1-line block ×4, first 2 shown]
	v_add_f64 v[62:63], v[70:71], -v[66:67]
	v_add_f64 v[84:85], v[66:67], -v[70:71]
	v_add_f64 v[4:5], v[88:89], v[54:55]
	v_add_f64 v[88:89], v[36:37], -v[24:25]
	v_fma_f64 v[56:57], v[76:77], s[8:9], v[86:87]
	v_add_f64 v[54:55], v[28:29], v[40:41]
	v_fma_f64 v[10:11], v[58:59], s[0:1], v[90:91]
	v_fma_f64 v[80:81], v[76:77], s[16:17], v[86:87]
	v_add_f64 v[86:87], v[92:93], v[44:45]
	v_fma_f64 v[14:15], v[58:59], s[0:1], v[52:53]
	v_add_f64 v[58:59], v[30:31], v[42:43]
	v_fma_f64 v[82:83], v[94:95], s[16:17], v[102:103]
	v_fma_f64 v[52:53], v[72:73], s[10:11], v[68:69]
	v_fma_f64 v[68:69], v[78:79], -0.5, v[18:19]
	v_add_f64 v[78:79], v[96:97], v[46:47]
	v_add_f64 v[48:49], v[48:49], v[50:51]
	;; [unrolled: 1-line block ×3, first 2 shown]
	v_add_f64 v[70:71], v[70:71], -v[24:25]
	v_add_f64 v[90:91], v[98:99], v[36:37]
	v_add_f64 v[36:37], v[66:67], -v[36:37]
	v_fma_f64 v[18:19], v[60:61], -0.5, v[18:19]
	v_add_f64 v[98:99], v[28:29], -v[40:41]
	v_add_f64 v[60:61], v[62:63], v[64:65]
	v_add_f64 v[62:63], v[32:33], v[92:93]
	v_add_f64 v[64:65], v[96:97], -v[46:47]
	v_add_f64 v[84:85], v[84:85], v[88:89]
	v_add_f64 v[88:89], v[34:35], v[96:97]
	v_fma_f64 v[56:57], v[94:95], s[2:3], v[56:57]
	v_fma_f64 v[54:55], v[54:55], -0.5, v[32:33]
	v_fma_f64 v[66:67], v[94:95], s[10:11], v[80:81]
	v_fma_f64 v[32:33], v[86:87], -0.5, v[32:33]
	v_fma_f64 v[86:87], v[94:95], s[8:9], v[102:103]
	v_fma_f64 v[58:59], v[58:59], -0.5, v[34:35]
	v_add_f64 v[94:95], v[92:93], -v[44:45]
	v_fma_f64 v[80:81], v[76:77], s[2:3], v[82:83]
	v_add_f64 v[82:83], v[30:31], -v[42:43]
	v_fma_f64 v[34:35], v[78:79], -0.5, v[34:35]
	v_fma_f64 v[72:73], v[72:73], s[2:3], v[100:101]
	v_add_f64 v[50:51], v[50:51], v[22:23]
	v_fma_f64 v[78:79], v[70:71], s[16:17], v[68:69]
	v_add_f64 v[100:101], v[74:75], -v[22:23]
	v_add_f64 v[102:103], v[26:27], -v[38:39]
	v_fma_f64 v[104:105], v[36:37], s[8:9], v[18:19]
	v_add_f64 v[22:23], v[22:23], -v[74:75]
	v_add_f64 v[74:75], v[38:39], -v[26:27]
	v_fma_f64 v[18:19], v[36:37], s[16:17], v[18:19]
	v_fma_f64 v[68:69], v[70:71], s[8:9], v[68:69]
	v_add_f64 v[62:63], v[62:63], v[28:29]
	v_add_f64 v[88:89], v[88:89], v[30:31]
	v_add_f64 v[118:119], v[46:47], -v[42:43]
	v_fma_f64 v[106:107], v[64:65], s[8:9], v[54:55]
	v_fma_f64 v[54:55], v[64:65], s[16:17], v[54:55]
	v_add_f64 v[28:29], v[28:29], -v[92:93]
	v_add_f64 v[92:93], v[40:41], -v[44:45]
	v_add_f64 v[30:31], v[30:31], -v[96:97]
	v_fma_f64 v[114:115], v[94:95], s[16:17], v[58:59]
	v_add_f64 v[96:97], v[42:43], -v[46:47]
	v_fma_f64 v[112:113], v[82:83], s[16:17], v[32:33]
	v_fma_f64 v[120:121], v[98:99], s[8:9], v[34:35]
	v_fma_f64 v[32:33], v[82:83], s[8:9], v[32:33]
	v_fma_f64 v[34:35], v[98:99], s[16:17], v[34:35]
	v_fma_f64 v[58:59], v[94:95], s[8:9], v[58:59]
	v_add_f64 v[38:39], v[50:51], v[38:39]
	v_fma_f64 v[50:51], v[36:37], s[10:11], v[78:79]
	v_add_f64 v[78:79], v[100:101], v[102:103]
	v_fma_f64 v[76:77], v[76:77], s[10:11], v[86:87]
	v_fma_f64 v[86:87], v[70:71], s[10:11], v[104:105]
	v_add_f64 v[74:75], v[22:23], v[74:75]
	v_fma_f64 v[70:71], v[70:71], s[2:3], v[18:19]
	v_fma_f64 v[68:69], v[36:37], s[2:3], v[68:69]
	v_add_f64 v[62:63], v[62:63], v[40:41]
	v_add_f64 v[88:89], v[88:89], v[42:43]
	v_fma_f64 v[100:101], v[82:83], s[2:3], v[106:107]
	v_add_f64 v[102:103], v[108:109], v[110:111]
	v_add_f64 v[106:107], v[116:117], v[118:119]
	v_fma_f64 v[54:55], v[82:83], s[10:11], v[54:55]
	v_add_f64 v[92:93], v[28:29], v[92:93]
	v_fma_f64 v[104:105], v[98:99], s[10:11], v[114:115]
	;; [unrolled: 2-line block ×3, first 2 shown]
	v_fma_f64 v[108:109], v[94:95], s[10:11], v[120:121]
	v_fma_f64 v[64:65], v[64:65], s[10:11], v[32:33]
	;; [unrolled: 1-line block ×6, first 2 shown]
	v_add_f64 v[24:25], v[90:91], v[24:25]
	v_add_f64 v[26:27], v[38:39], v[26:27]
	v_fma_f64 v[28:29], v[60:61], s[0:1], v[56:57]
	v_fma_f64 v[30:31], v[78:79], s[0:1], v[50:51]
	;; [unrolled: 1-line block ×8, first 2 shown]
	v_add_f64 v[44:45], v[62:63], v[44:45]
	v_add_f64 v[46:47], v[88:89], v[46:47]
	v_fma_f64 v[48:49], v[102:103], s[0:1], v[100:101]
	v_fma_f64 v[50:51], v[106:107], s[0:1], v[104:105]
	;; [unrolled: 1-line block ×8, first 2 shown]
	ds_write_b128 v7, v[2:5]
	ds_write_b128 v7, v[8:11] offset:1632
	ds_write_b128 v7, v[16:19] offset:3264
	;; [unrolled: 1-line block ×14, first 2 shown]
	s_waitcnt lgkmcnt(0)
	s_barrier
	buffer_gl0_inv
	s_and_b32 exec_lo, exec_lo, vcc_lo
	s_cbranch_execz .LBB0_23
; %bb.22:
	v_lshlrev_b32_e32 v6, 4, v255
	v_mad_u64_u32 v[16:17], null, s6, v212, 0
	s_mov_b32 s0, 0x10101010
	s_mov_b32 s1, 0x3f601010
	global_load_dwordx4 v[0:3], v6, s[12:13]
	ds_read_b128 v[8:11], v7
	ds_read_b128 v[12:15], v7 offset:480
	s_mul_i32 s2, s5, 0x1e0
	s_mul_hi_u32 s6, s4, 0x1e0
	s_mul_i32 s3, s4, 0x1e0
	s_add_i32 s2, s6, s2
	s_waitcnt vmcnt(0) lgkmcnt(1)
	v_mul_f64 v[4:5], v[10:11], v[2:3]
	v_mul_f64 v[2:3], v[8:9], v[2:3]
	v_fma_f64 v[4:5], v[8:9], v[0:1], v[4:5]
	v_fma_f64 v[0:1], v[0:1], v[10:11], -v[2:3]
	v_mad_u64_u32 v[8:9], null, s4, v255, 0
	v_mov_b32_e32 v2, v17
	v_mov_b32_e32 v3, v9
	v_mad_u64_u32 v[9:10], null, s7, v212, v[2:3]
	v_mad_u64_u32 v[10:11], null, s5, v255, v[3:4]
	v_mov_b32_e32 v17, v9
	v_mul_f64 v[2:3], v[4:5], s[0:1]
	v_mul_f64 v[4:5], v[0:1], s[0:1]
	v_lshlrev_b64 v[0:1], 4, v[16:17]
	v_mov_b32_e32 v9, v10
	v_add_co_u32 v0, vcc_lo, s14, v0
	v_lshlrev_b64 v[8:9], 4, v[8:9]
	v_add_co_ci_u32_e32 v1, vcc_lo, s15, v1, vcc_lo
	v_add_co_u32 v8, vcc_lo, v0, v8
	v_add_co_ci_u32_e32 v9, vcc_lo, v1, v9, vcc_lo
	v_add_co_u32 v16, vcc_lo, v8, s3
	global_store_dwordx4 v[8:9], v[2:5], off
	global_load_dwordx4 v[2:5], v6, s[12:13] offset:480
	v_add_co_ci_u32_e32 v17, vcc_lo, s2, v9, vcc_lo
	s_waitcnt vmcnt(0) lgkmcnt(0)
	v_mul_f64 v[10:11], v[14:15], v[4:5]
	v_mul_f64 v[4:5], v[12:13], v[4:5]
	v_fma_f64 v[10:11], v[12:13], v[2:3], v[10:11]
	v_fma_f64 v[4:5], v[2:3], v[14:15], -v[4:5]
	v_mul_f64 v[2:3], v[10:11], s[0:1]
	v_mul_f64 v[4:5], v[4:5], s[0:1]
	global_store_dwordx4 v[16:17], v[2:5], off
	global_load_dwordx4 v[2:5], v6, s[12:13] offset:960
	ds_read_b128 v[8:11], v7 offset:960
	ds_read_b128 v[12:15], v7 offset:1440
	s_waitcnt vmcnt(0) lgkmcnt(1)
	v_mul_f64 v[18:19], v[10:11], v[4:5]
	v_mul_f64 v[4:5], v[8:9], v[4:5]
	v_fma_f64 v[8:9], v[8:9], v[2:3], v[18:19]
	v_fma_f64 v[4:5], v[2:3], v[10:11], -v[4:5]
	v_mul_f64 v[2:3], v[8:9], s[0:1]
	v_mul_f64 v[4:5], v[4:5], s[0:1]
	v_add_co_u32 v8, vcc_lo, v16, s3
	v_add_co_ci_u32_e32 v9, vcc_lo, s2, v17, vcc_lo
	v_add_co_u32 v16, vcc_lo, v8, s3
	v_add_co_ci_u32_e32 v17, vcc_lo, s2, v9, vcc_lo
	global_store_dwordx4 v[8:9], v[2:5], off
	global_load_dwordx4 v[2:5], v6, s[12:13] offset:1440
	s_waitcnt vmcnt(0) lgkmcnt(0)
	v_mul_f64 v[10:11], v[14:15], v[4:5]
	v_mul_f64 v[4:5], v[12:13], v[4:5]
	v_fma_f64 v[10:11], v[12:13], v[2:3], v[10:11]
	v_fma_f64 v[4:5], v[2:3], v[14:15], -v[4:5]
	v_mul_f64 v[2:3], v[10:11], s[0:1]
	v_mul_f64 v[4:5], v[4:5], s[0:1]
	global_store_dwordx4 v[16:17], v[2:5], off
	global_load_dwordx4 v[2:5], v6, s[12:13] offset:1920
	ds_read_b128 v[8:11], v7 offset:1920
	ds_read_b128 v[12:15], v7 offset:2400
	v_add_co_u32 v6, s6, s12, v6
	v_add_co_ci_u32_e64 v22, null, s13, 0, s6
	s_waitcnt vmcnt(0) lgkmcnt(1)
	v_mul_f64 v[18:19], v[10:11], v[4:5]
	v_mul_f64 v[4:5], v[8:9], v[4:5]
	v_fma_f64 v[8:9], v[8:9], v[2:3], v[18:19]
	v_fma_f64 v[4:5], v[2:3], v[10:11], -v[4:5]
	v_mul_f64 v[2:3], v[8:9], s[0:1]
	v_mul_f64 v[4:5], v[4:5], s[0:1]
	v_add_co_u32 v8, vcc_lo, v16, s3
	v_add_co_ci_u32_e32 v9, vcc_lo, s2, v17, vcc_lo
	v_add_co_u32 v16, vcc_lo, 0x800, v6
	v_add_co_ci_u32_e32 v17, vcc_lo, 0, v22, vcc_lo
	;; [unrolled: 2-line block ×3, first 2 shown]
	global_store_dwordx4 v[8:9], v[2:5], off
	global_load_dwordx4 v[2:5], v[16:17], off offset:352
	s_waitcnt vmcnt(0) lgkmcnt(0)
	v_mul_f64 v[10:11], v[14:15], v[4:5]
	v_mul_f64 v[4:5], v[12:13], v[4:5]
	v_fma_f64 v[10:11], v[12:13], v[2:3], v[10:11]
	v_fma_f64 v[4:5], v[2:3], v[14:15], -v[4:5]
	v_mul_f64 v[2:3], v[10:11], s[0:1]
	v_mul_f64 v[4:5], v[4:5], s[0:1]
	global_store_dwordx4 v[18:19], v[2:5], off
	global_load_dwordx4 v[2:5], v[16:17], off offset:832
	ds_read_b128 v[8:11], v7 offset:2880
	ds_read_b128 v[12:15], v7 offset:3360
	s_waitcnt vmcnt(0) lgkmcnt(1)
	v_mul_f64 v[20:21], v[10:11], v[4:5]
	v_mul_f64 v[4:5], v[8:9], v[4:5]
	v_fma_f64 v[8:9], v[8:9], v[2:3], v[20:21]
	v_fma_f64 v[4:5], v[2:3], v[10:11], -v[4:5]
	v_mul_f64 v[2:3], v[8:9], s[0:1]
	v_mul_f64 v[4:5], v[4:5], s[0:1]
	v_add_co_u32 v8, vcc_lo, v18, s3
	v_add_co_ci_u32_e32 v9, vcc_lo, s2, v19, vcc_lo
	v_add_co_u32 v18, vcc_lo, v8, s3
	v_add_co_ci_u32_e32 v19, vcc_lo, s2, v9, vcc_lo
	global_store_dwordx4 v[8:9], v[2:5], off
	global_load_dwordx4 v[2:5], v[16:17], off offset:1312
	s_waitcnt vmcnt(0) lgkmcnt(0)
	v_mul_f64 v[10:11], v[14:15], v[4:5]
	v_mul_f64 v[4:5], v[12:13], v[4:5]
	v_fma_f64 v[10:11], v[12:13], v[2:3], v[10:11]
	v_fma_f64 v[4:5], v[2:3], v[14:15], -v[4:5]
	v_mul_f64 v[2:3], v[10:11], s[0:1]
	v_mul_f64 v[4:5], v[4:5], s[0:1]
	global_store_dwordx4 v[18:19], v[2:5], off
	global_load_dwordx4 v[2:5], v[16:17], off offset:1792
	ds_read_b128 v[8:11], v7 offset:3840
	ds_read_b128 v[12:15], v7 offset:4320
	s_waitcnt vmcnt(0) lgkmcnt(1)
	v_mul_f64 v[16:17], v[10:11], v[4:5]
	v_mul_f64 v[4:5], v[8:9], v[4:5]
	v_fma_f64 v[8:9], v[8:9], v[2:3], v[16:17]
	v_fma_f64 v[4:5], v[2:3], v[10:11], -v[4:5]
	v_mul_f64 v[2:3], v[8:9], s[0:1]
	v_mul_f64 v[4:5], v[4:5], s[0:1]
	v_add_co_u32 v8, vcc_lo, v18, s3
	v_add_co_ci_u32_e32 v9, vcc_lo, s2, v19, vcc_lo
	v_add_co_u32 v16, vcc_lo, 0x1000, v6
	v_add_co_ci_u32_e32 v17, vcc_lo, 0, v22, vcc_lo
	;; [unrolled: 2-line block ×3, first 2 shown]
	global_store_dwordx4 v[8:9], v[2:5], off
	global_load_dwordx4 v[2:5], v[16:17], off offset:224
	s_waitcnt vmcnt(0) lgkmcnt(0)
	v_mul_f64 v[10:11], v[14:15], v[4:5]
	v_mul_f64 v[4:5], v[12:13], v[4:5]
	v_fma_f64 v[10:11], v[12:13], v[2:3], v[10:11]
	v_fma_f64 v[4:5], v[2:3], v[14:15], -v[4:5]
	v_mul_f64 v[2:3], v[10:11], s[0:1]
	v_mul_f64 v[4:5], v[4:5], s[0:1]
	global_store_dwordx4 v[18:19], v[2:5], off
	global_load_dwordx4 v[2:5], v[16:17], off offset:704
	ds_read_b128 v[8:11], v7 offset:4800
	ds_read_b128 v[12:15], v7 offset:5280
	s_waitcnt vmcnt(0) lgkmcnt(1)
	v_mul_f64 v[20:21], v[10:11], v[4:5]
	v_mul_f64 v[4:5], v[8:9], v[4:5]
	v_fma_f64 v[8:9], v[8:9], v[2:3], v[20:21]
	v_fma_f64 v[4:5], v[2:3], v[10:11], -v[4:5]
	v_mul_f64 v[2:3], v[8:9], s[0:1]
	v_mul_f64 v[4:5], v[4:5], s[0:1]
	v_add_co_u32 v8, vcc_lo, v18, s3
	v_add_co_ci_u32_e32 v9, vcc_lo, s2, v19, vcc_lo
	v_add_co_u32 v18, vcc_lo, v8, s3
	v_add_co_ci_u32_e32 v19, vcc_lo, s2, v9, vcc_lo
	global_store_dwordx4 v[8:9], v[2:5], off
	global_load_dwordx4 v[2:5], v[16:17], off offset:1184
	s_waitcnt vmcnt(0) lgkmcnt(0)
	v_mul_f64 v[10:11], v[14:15], v[4:5]
	v_mul_f64 v[4:5], v[12:13], v[4:5]
	v_fma_f64 v[10:11], v[12:13], v[2:3], v[10:11]
	v_fma_f64 v[4:5], v[2:3], v[14:15], -v[4:5]
	v_mul_f64 v[2:3], v[10:11], s[0:1]
	v_mul_f64 v[4:5], v[4:5], s[0:1]
	global_store_dwordx4 v[18:19], v[2:5], off
	global_load_dwordx4 v[2:5], v[16:17], off offset:1664
	ds_read_b128 v[8:11], v7 offset:5760
	ds_read_b128 v[12:15], v7 offset:6240
	s_waitcnt vmcnt(0) lgkmcnt(1)
	v_mul_f64 v[16:17], v[10:11], v[4:5]
	v_mul_f64 v[4:5], v[8:9], v[4:5]
	v_fma_f64 v[8:9], v[8:9], v[2:3], v[16:17]
	v_fma_f64 v[4:5], v[2:3], v[10:11], -v[4:5]
	v_mul_f64 v[2:3], v[8:9], s[0:1]
	v_mul_f64 v[4:5], v[4:5], s[0:1]
	v_add_co_u32 v8, vcc_lo, v18, s3
	v_add_co_ci_u32_e32 v9, vcc_lo, s2, v19, vcc_lo
	v_add_co_u32 v16, vcc_lo, 0x1800, v6
	v_add_co_ci_u32_e32 v17, vcc_lo, 0, v22, vcc_lo
	;; [unrolled: 2-line block ×3, first 2 shown]
	global_store_dwordx4 v[8:9], v[2:5], off
	global_load_dwordx4 v[2:5], v[16:17], off offset:96
	s_waitcnt vmcnt(0) lgkmcnt(0)
	v_mul_f64 v[10:11], v[14:15], v[4:5]
	v_mul_f64 v[4:5], v[12:13], v[4:5]
	v_fma_f64 v[10:11], v[12:13], v[2:3], v[10:11]
	v_fma_f64 v[4:5], v[2:3], v[14:15], -v[4:5]
	v_mul_f64 v[2:3], v[10:11], s[0:1]
	v_mul_f64 v[4:5], v[4:5], s[0:1]
	global_store_dwordx4 v[18:19], v[2:5], off
	global_load_dwordx4 v[2:5], v[16:17], off offset:576
	ds_read_b128 v[8:11], v7 offset:6720
	ds_read_b128 v[12:15], v7 offset:7200
	s_waitcnt vmcnt(0) lgkmcnt(1)
	v_mul_f64 v[20:21], v[10:11], v[4:5]
	v_mul_f64 v[4:5], v[8:9], v[4:5]
	v_fma_f64 v[8:9], v[8:9], v[2:3], v[20:21]
	v_fma_f64 v[4:5], v[2:3], v[10:11], -v[4:5]
	v_mul_f64 v[2:3], v[8:9], s[0:1]
	v_mul_f64 v[4:5], v[4:5], s[0:1]
	v_add_co_u32 v8, vcc_lo, v18, s3
	v_add_co_ci_u32_e32 v9, vcc_lo, s2, v19, vcc_lo
	global_store_dwordx4 v[8:9], v[2:5], off
	global_load_dwordx4 v[2:5], v[16:17], off offset:1056
	v_add_co_u32 v8, vcc_lo, v8, s3
	v_add_co_ci_u32_e32 v9, vcc_lo, s2, v9, vcc_lo
	s_waitcnt vmcnt(0) lgkmcnt(0)
	v_mul_f64 v[10:11], v[14:15], v[4:5]
	v_mul_f64 v[4:5], v[12:13], v[4:5]
	v_fma_f64 v[10:11], v[12:13], v[2:3], v[10:11]
	buffer_load_dword v12, off, s[60:63], 0 offset:128 ; 4-byte Folded Reload
	v_fma_f64 v[4:5], v[2:3], v[14:15], -v[4:5]
	v_mul_f64 v[2:3], v[10:11], s[0:1]
	v_mul_f64 v[4:5], v[4:5], s[0:1]
	global_store_dwordx4 v[8:9], v[2:5], off
	s_waitcnt vmcnt(0)
	v_lshlrev_b32_e32 v6, 4, v12
	global_load_dwordx4 v[2:5], v6, s[12:13]
	ds_read_b128 v[6:9], v7 offset:7680
	s_waitcnt vmcnt(0) lgkmcnt(0)
	v_mul_f64 v[10:11], v[8:9], v[4:5]
	v_mul_f64 v[4:5], v[6:7], v[4:5]
	v_fma_f64 v[6:7], v[6:7], v[2:3], v[10:11]
	v_fma_f64 v[4:5], v[2:3], v[8:9], -v[4:5]
	v_mad_u64_u32 v[8:9], null, s4, v12, 0
	v_mov_b32_e32 v2, v9
	v_mad_u64_u32 v[9:10], null, s5, v12, v[2:3]
	v_mul_f64 v[2:3], v[6:7], s[0:1]
	v_mul_f64 v[4:5], v[4:5], s[0:1]
	v_lshlrev_b64 v[6:7], 4, v[8:9]
	v_add_co_u32 v0, vcc_lo, v0, v6
	v_add_co_ci_u32_e32 v1, vcc_lo, v1, v7, vcc_lo
	global_store_dwordx4 v[0:1], v[2:5], off
.LBB0_23:
	s_endpgm
	.section	.rodata,"a",@progbits
	.p2align	6, 0x0
	.amdhsa_kernel bluestein_single_back_len510_dim1_dp_op_CI_CI
		.amdhsa_group_segment_fixed_size 57120
		.amdhsa_private_segment_fixed_size 424
		.amdhsa_kernarg_size 104
		.amdhsa_user_sgpr_count 6
		.amdhsa_user_sgpr_private_segment_buffer 1
		.amdhsa_user_sgpr_dispatch_ptr 0
		.amdhsa_user_sgpr_queue_ptr 0
		.amdhsa_user_sgpr_kernarg_segment_ptr 1
		.amdhsa_user_sgpr_dispatch_id 0
		.amdhsa_user_sgpr_flat_scratch_init 0
		.amdhsa_user_sgpr_private_segment_size 0
		.amdhsa_wavefront_size32 1
		.amdhsa_uses_dynamic_stack 0
		.amdhsa_system_sgpr_private_segment_wavefront_offset 1
		.amdhsa_system_sgpr_workgroup_id_x 1
		.amdhsa_system_sgpr_workgroup_id_y 0
		.amdhsa_system_sgpr_workgroup_id_z 0
		.amdhsa_system_sgpr_workgroup_info 0
		.amdhsa_system_vgpr_workitem_id 0
		.amdhsa_next_free_vgpr 256
		.amdhsa_next_free_sgpr 64
		.amdhsa_reserve_vcc 1
		.amdhsa_reserve_flat_scratch 0
		.amdhsa_float_round_mode_32 0
		.amdhsa_float_round_mode_16_64 0
		.amdhsa_float_denorm_mode_32 3
		.amdhsa_float_denorm_mode_16_64 3
		.amdhsa_dx10_clamp 1
		.amdhsa_ieee_mode 1
		.amdhsa_fp16_overflow 0
		.amdhsa_workgroup_processor_mode 1
		.amdhsa_memory_ordered 1
		.amdhsa_forward_progress 0
		.amdhsa_shared_vgpr_count 0
		.amdhsa_exception_fp_ieee_invalid_op 0
		.amdhsa_exception_fp_denorm_src 0
		.amdhsa_exception_fp_ieee_div_zero 0
		.amdhsa_exception_fp_ieee_overflow 0
		.amdhsa_exception_fp_ieee_underflow 0
		.amdhsa_exception_fp_ieee_inexact 0
		.amdhsa_exception_int_div_zero 0
	.end_amdhsa_kernel
	.text
.Lfunc_end0:
	.size	bluestein_single_back_len510_dim1_dp_op_CI_CI, .Lfunc_end0-bluestein_single_back_len510_dim1_dp_op_CI_CI
                                        ; -- End function
	.section	.AMDGPU.csdata,"",@progbits
; Kernel info:
; codeLenInByte = 29620
; NumSgprs: 66
; NumVgprs: 256
; ScratchSize: 424
; MemoryBound: 0
; FloatMode: 240
; IeeeMode: 1
; LDSByteSize: 57120 bytes/workgroup (compile time only)
; SGPRBlocks: 8
; VGPRBlocks: 31
; NumSGPRsForWavesPerEU: 66
; NumVGPRsForWavesPerEU: 256
; Occupancy: 4
; WaveLimiterHint : 1
; COMPUTE_PGM_RSRC2:SCRATCH_EN: 1
; COMPUTE_PGM_RSRC2:USER_SGPR: 6
; COMPUTE_PGM_RSRC2:TRAP_HANDLER: 0
; COMPUTE_PGM_RSRC2:TGID_X_EN: 1
; COMPUTE_PGM_RSRC2:TGID_Y_EN: 0
; COMPUTE_PGM_RSRC2:TGID_Z_EN: 0
; COMPUTE_PGM_RSRC2:TIDIG_COMP_CNT: 0
	.text
	.p2alignl 6, 3214868480
	.fill 48, 4, 3214868480
	.type	__hip_cuid_9607e3d1e2165057,@object ; @__hip_cuid_9607e3d1e2165057
	.section	.bss,"aw",@nobits
	.globl	__hip_cuid_9607e3d1e2165057
__hip_cuid_9607e3d1e2165057:
	.byte	0                               ; 0x0
	.size	__hip_cuid_9607e3d1e2165057, 1

	.ident	"AMD clang version 19.0.0git (https://github.com/RadeonOpenCompute/llvm-project roc-6.4.0 25133 c7fe45cf4b819c5991fe208aaa96edf142730f1d)"
	.section	".note.GNU-stack","",@progbits
	.addrsig
	.addrsig_sym __hip_cuid_9607e3d1e2165057
	.amdgpu_metadata
---
amdhsa.kernels:
  - .args:
      - .actual_access:  read_only
        .address_space:  global
        .offset:         0
        .size:           8
        .value_kind:     global_buffer
      - .actual_access:  read_only
        .address_space:  global
        .offset:         8
        .size:           8
        .value_kind:     global_buffer
      - .actual_access:  read_only
        .address_space:  global
        .offset:         16
        .size:           8
        .value_kind:     global_buffer
      - .actual_access:  read_only
        .address_space:  global
        .offset:         24
        .size:           8
        .value_kind:     global_buffer
      - .actual_access:  read_only
        .address_space:  global
        .offset:         32
        .size:           8
        .value_kind:     global_buffer
      - .offset:         40
        .size:           8
        .value_kind:     by_value
      - .address_space:  global
        .offset:         48
        .size:           8
        .value_kind:     global_buffer
      - .address_space:  global
        .offset:         56
        .size:           8
        .value_kind:     global_buffer
      - .address_space:  global
        .offset:         64
        .size:           8
        .value_kind:     global_buffer
      - .address_space:  global
        .offset:         72
        .size:           8
        .value_kind:     global_buffer
      - .offset:         80
        .size:           4
        .value_kind:     by_value
      - .address_space:  global
        .offset:         88
        .size:           8
        .value_kind:     global_buffer
      - .address_space:  global
        .offset:         96
        .size:           8
        .value_kind:     global_buffer
    .group_segment_fixed_size: 57120
    .kernarg_segment_align: 8
    .kernarg_segment_size: 104
    .language:       OpenCL C
    .language_version:
      - 2
      - 0
    .max_flat_workgroup_size: 238
    .name:           bluestein_single_back_len510_dim1_dp_op_CI_CI
    .private_segment_fixed_size: 424
    .sgpr_count:     66
    .sgpr_spill_count: 0
    .symbol:         bluestein_single_back_len510_dim1_dp_op_CI_CI.kd
    .uniform_work_group_size: 1
    .uses_dynamic_stack: false
    .vgpr_count:     256
    .vgpr_spill_count: 109
    .wavefront_size: 32
    .workgroup_processor_mode: 1
amdhsa.target:   amdgcn-amd-amdhsa--gfx1030
amdhsa.version:
  - 1
  - 2
...

	.end_amdgpu_metadata
